;; amdgpu-corpus repo=ROCm/rocSPARSE kind=compiled arch=gfx90a opt=O3
	.text
	.amdgcn_target "amdgcn-amd-amdhsa--gfx90a"
	.amdhsa_code_object_version 6
	.section	.text._ZN9rocsparseL29bsrmmnn_small_blockdim_kernelILj64ELj8ELj2EiiffffEEv20rocsparse_direction_T3_S2_llNS_24const_host_device_scalarIT7_EEPKT2_PKS2_PKT4_PKT5_llS5_PT6_ll16rocsparse_order_21rocsparse_index_base_b,"axG",@progbits,_ZN9rocsparseL29bsrmmnn_small_blockdim_kernelILj64ELj8ELj2EiiffffEEv20rocsparse_direction_T3_S2_llNS_24const_host_device_scalarIT7_EEPKT2_PKS2_PKT4_PKT5_llS5_PT6_ll16rocsparse_order_21rocsparse_index_base_b,comdat
	.globl	_ZN9rocsparseL29bsrmmnn_small_blockdim_kernelILj64ELj8ELj2EiiffffEEv20rocsparse_direction_T3_S2_llNS_24const_host_device_scalarIT7_EEPKT2_PKS2_PKT4_PKT5_llS5_PT6_ll16rocsparse_order_21rocsparse_index_base_b ; -- Begin function _ZN9rocsparseL29bsrmmnn_small_blockdim_kernelILj64ELj8ELj2EiiffffEEv20rocsparse_direction_T3_S2_llNS_24const_host_device_scalarIT7_EEPKT2_PKS2_PKT4_PKT5_llS5_PT6_ll16rocsparse_order_21rocsparse_index_base_b
	.p2align	8
	.type	_ZN9rocsparseL29bsrmmnn_small_blockdim_kernelILj64ELj8ELj2EiiffffEEv20rocsparse_direction_T3_S2_llNS_24const_host_device_scalarIT7_EEPKT2_PKS2_PKT4_PKT5_llS5_PT6_ll16rocsparse_order_21rocsparse_index_base_b,@function
_ZN9rocsparseL29bsrmmnn_small_blockdim_kernelILj64ELj8ELj2EiiffffEEv20rocsparse_direction_T3_S2_llNS_24const_host_device_scalarIT7_EEPKT2_PKS2_PKT4_PKT5_llS5_PT6_ll16rocsparse_order_21rocsparse_index_base_b: ; @_ZN9rocsparseL29bsrmmnn_small_blockdim_kernelILj64ELj8ELj2EiiffffEEv20rocsparse_direction_T3_S2_llNS_24const_host_device_scalarIT7_EEPKT2_PKS2_PKT4_PKT5_llS5_PT6_ll16rocsparse_order_21rocsparse_index_base_b
; %bb.0:
	s_load_dwordx4 s[16:19], s[4:5], 0x78
	s_load_dwordx2 s[2:3], s[4:5], 0x20
	s_load_dwordx2 s[28:29], s[4:5], 0x58
	s_waitcnt lgkmcnt(0)
	s_bitcmp1_b32 s18, 0
	s_cselect_b64 s[8:9], -1, 0
	s_xor_b64 s[0:1], s[8:9], -1
	s_and_b64 vcc, exec, s[8:9]
	s_cbranch_vccnz .LBB0_2
; %bb.1:
	s_load_dword s2, s[2:3], 0x0
.LBB0_2:
	s_andn2_b64 vcc, exec, s[0:1]
	s_cbranch_vccnz .LBB0_4
; %bb.3:
	s_load_dword s28, s[28:29], 0x0
.LBB0_4:
	s_waitcnt lgkmcnt(0)
	v_cmp_eq_f32_e64 s[0:1], s2, 0
	v_cmp_eq_f32_e64 s[8:9], s28, 1.0
	s_and_b64 s[0:1], s[0:1], s[8:9]
	s_and_b64 vcc, exec, s[0:1]
	s_cbranch_vccnz .LBB0_28
; %bb.5:
	s_load_dword s0, s[4:5], 0x88
	s_load_dwordx4 s[20:23], s[4:5], 0x0
	s_add_u32 s1, s4, 0x88
	s_addc_u32 s3, s5, 0
	v_mov_b32_e32 v1, 0
	s_waitcnt lgkmcnt(0)
	s_cmp_lt_u32 s6, s0
	s_cselect_b32 s8, 12, 18
	s_add_u32 s8, s1, s8
	s_addc_u32 s9, s3, 0
	global_load_ushort v4, v1, s[8:9]
	s_waitcnt vmcnt(0)
	v_mul_lo_u32 v2, s6, v4
	v_add_u32_e32 v3, v2, v0
	v_lshrrev_b32_e32 v2, 4, v3
	v_cmp_gt_i32_e32 vcc, s21, v2
	s_and_saveexec_b64 s[8:9], vcc
	s_cbranch_execz .LBB0_28
; %bb.6:
	v_and_b32_e32 v10, 7, v3
	v_mul_lo_u32 v4, s0, v4
	s_load_dwordx4 s[24:27], s[4:5], 0x60
	s_load_dwordx2 s[0:1], s[4:5], 0x48
	v_lshl_or_b32 v6, s7, 3, v10
	v_ashrrev_i32_e32 v7, 31, v6
	v_lshrrev_b32_e32 v11, 4, v4
	v_lshlrev_b64 v[4:5], 2, v[6:7]
	s_load_dwordx8 s[8:15], s[4:5], 0x28
	s_waitcnt lgkmcnt(0)
	v_mov_b32_e32 v19, s25
	v_add_co_u32_e32 v20, vcc, s24, v4
	v_addc_co_u32_e32 v21, vcc, v19, v5, vcc
	v_mul_lo_u32 v8, v7, s0
	v_mul_lo_u32 v9, v6, s1
	v_mad_u64_u32 v[4:5], s[0:1], v6, s0, 0
	v_lshrrev_b32_e32 v0, 3, v0
	v_add3_u32 v5, v5, v9, v8
	v_mov_b32_e32 v8, 0x300
	v_lshl_or_b32 v12, v0, 5, v8
	v_mul_u32_u24_e32 v8, 3, v10
	v_lshlrev_b32_e32 v8, 2, v8
	s_movk_i32 s0, 0x60
	v_lshlrev_b64 v[4:5], 2, v[4:5]
	v_lshrrev_b32_e32 v18, 3, v3
	v_mad_u32_u24 v14, v0, s0, v8
	v_mul_u32_u24_e32 v15, 0x60, v0
	v_mov_b32_e32 v0, s15
	v_add_co_u32_e32 v16, vcc, s14, v4
	v_addc_co_u32_e32 v17, vcc, v0, v5, vcc
	v_mad_u64_u32 v[4:5], s[14:15], v18, s26, 0
	v_mov_b32_e32 v0, v5
	v_mad_u64_u32 v[8:9], s[14:15], v18, s27, v[0:1]
	v_mov_b32_e32 v5, v8
	v_cmp_gt_i32_e64 s[0:1], s22, v6
	v_lshlrev_b64 v[4:5], 2, v[4:5]
	v_mul_lo_u32 v0, v7, s26
	v_mul_lo_u32 v8, v6, s27
	v_mad_u64_u32 v[6:7], s[14:15], v6, s26, 0
	v_add_co_u32_e32 v4, vcc, v20, v4
	v_add3_u32 v7, v7, v8, v0
	s_cmp_lg_u32 s16, 1
	v_addc_co_u32_e32 v5, vcc, v21, v5, vcc
	v_lshlrev_b64 v[6:7], 2, v[6:7]
	s_cselect_b64 s[4:5], -1, 0
	s_cmp_eq_u32 s20, 0
	v_add_co_u32_e32 v0, vcc, s24, v6
	v_addc_co_u32_e32 v7, vcc, v19, v7, vcc
	v_lshlrev_b32_e32 v6, 2, v18
	s_cselect_b64 s[14:15], -1, 0
	v_bfe_u32 v3, v3, 3, 1
	v_add_co_u32_e32 v6, vcc, v0, v6
	v_cndmask_b32_e64 v0, 0, 1, s[14:15]
	s_and_b64 s[14:15], s[14:15], exec
	v_lshl_or_b32 v13, v10, 2, v12
	v_cmp_neq_f32_e64 s[6:7], s28, 0
	v_addc_co_u32_e32 v7, vcc, 0, v7, vcc
	s_cselect_b32 s3, 1, 2
	v_lshlrev_b32_e32 v18, v0, v3
	v_subrev_u32_e32 v19, s17, v10
	s_mov_b64 s[14:15], 0
	v_mov_b32_e32 v20, s9
	s_branch .LBB0_8
.LBB0_7:                                ;   in Loop: Header=BB0_8 Depth=1
	s_or_b64 exec, exec, s[18:19]
	v_add_u32_e32 v2, v2, v11
	v_cmp_le_i32_e32 vcc, s21, v2
	s_or_b64 s[14:15], vcc, s[14:15]
	s_andn2_b64 exec, exec, s[14:15]
	s_cbranch_execz .LBB0_28
.LBB0_8:                                ; =>This Loop Header: Depth=1
                                        ;     Child Loop BB0_11 Depth 2
	v_mov_b32_e32 v3, v1
	v_lshlrev_b64 v[8:9], 2, v[2:3]
	v_add_co_u32_e32 v8, vcc, s8, v8
	v_addc_co_u32_e32 v9, vcc, v20, v9, vcc
	global_load_dwordx2 v[8:9], v[8:9], off
	v_mov_b32_e32 v3, 0
	s_waitcnt vmcnt(0)
	v_cmp_lt_i32_e32 vcc, v8, v9
	s_and_saveexec_b64 s[18:19], vcc
	s_cbranch_execz .LBB0_16
; %bb.9:                                ;   in Loop: Header=BB0_8 Depth=1
	v_add_u32_e32 v0, v19, v8
	v_subrev_u32_e32 v21, s17, v9
	v_subrev_u32_e32 v22, s17, v8
	v_lshl_or_b32 v0, v0, 2, v18
	s_mov_b64 s[22:23], 0
	v_mov_b32_e32 v3, 0
	s_branch .LBB0_11
.LBB0_10:                               ;   in Loop: Header=BB0_11 Depth=2
	s_or_b64 exec, exec, s[24:25]
	v_add_u32_e32 v22, 8, v22
	v_cmp_ge_i32_e32 vcc, v22, v21
	s_or_b64 s[22:23], vcc, s[22:23]
	v_add_u32_e32 v0, 32, v0
	s_andn2_b64 exec, exec, s[22:23]
	s_cbranch_execz .LBB0_15
.LBB0_11:                               ;   Parent Loop BB0_8 Depth=1
                                        ; =>  This Inner Loop Header: Depth=2
	v_add_u32_e32 v8, v10, v22
	v_cmp_lt_i32_e32 vcc, v8, v21
	v_mov_b32_e32 v24, 0
	v_mov_b32_e32 v9, 0
	;; [unrolled: 1-line block ×3, first 2 shown]
	s_and_saveexec_b64 s[24:25], vcc
	s_cbranch_execz .LBB0_13
; %bb.12:                               ;   in Loop: Header=BB0_11 Depth=2
	v_ashrrev_i32_e32 v9, 31, v8
	v_lshlrev_b64 v[8:9], 2, v[8:9]
	v_mov_b32_e32 v23, s11
	v_add_co_u32_e32 v8, vcc, s10, v8
	v_addc_co_u32_e32 v9, vcc, v23, v9, vcc
	global_load_dword v28, v[8:9], off
	v_lshlrev_b64 v[8:9], 2, v[0:1]
	v_mov_b32_e32 v23, s13
	v_add_co_u32_e32 v24, vcc, s12, v8
	v_addc_co_u32_e32 v25, vcc, v23, v9, vcc
	v_add_u32_e32 v8, s3, v0
	v_mov_b32_e32 v9, v1
	v_lshlrev_b64 v[8:9], 2, v[8:9]
	v_add_co_u32_e32 v26, vcc, s12, v8
	v_addc_co_u32_e32 v27, vcc, v23, v9, vcc
	global_load_dword v9, v[24:25], off
	global_load_dword v23, v[26:27], off
	s_waitcnt vmcnt(2)
	v_subrev_u32_e32 v8, s17, v28
	v_lshlrev_b32_e32 v24, 1, v8
.LBB0_13:                               ;   in Loop: Header=BB0_11 Depth=2
	s_or_b64 exec, exec, s[24:25]
	ds_write_b32 v13, v24
	s_waitcnt vmcnt(0)
	ds_write2_b32 v14, v9, v23 offset1:1
	s_waitcnt lgkmcnt(0)
	; wave barrier
	s_waitcnt lgkmcnt(0)
	s_and_saveexec_b64 s[24:25], s[0:1]
	s_cbranch_execz .LBB0_10
; %bb.14:                               ;   in Loop: Header=BB0_11 Depth=2
	ds_read_b128 v[24:27], v12
	ds_read_b128 v[28:31], v12 offset:16
	s_waitcnt lgkmcnt(1)
	v_ashrrev_i32_e32 v9, 31, v24
	v_mov_b32_e32 v8, v24
	v_lshlrev_b64 v[8:9], 2, v[8:9]
	v_add_co_u32_e32 v8, vcc, v16, v8
	v_ashrrev_i32_e32 v33, 31, v25
	v_mov_b32_e32 v32, v25
	v_addc_co_u32_e32 v9, vcc, v17, v9, vcc
	v_lshlrev_b64 v[24:25], 2, v[32:33]
	v_add_co_u32_e32 v24, vcc, v16, v24
	v_ashrrev_i32_e32 v33, 31, v26
	v_mov_b32_e32 v32, v26
	v_addc_co_u32_e32 v25, vcc, v17, v25, vcc
	;; [unrolled: 5-line block ×3, first 2 shown]
	v_lshlrev_b64 v[26:27], 2, v[34:35]
	v_add_co_u32_e32 v26, vcc, v16, v26
	v_addc_co_u32_e32 v27, vcc, v17, v27, vcc
	global_load_dwordx2 v[34:35], v[8:9], off
	global_load_dwordx2 v[36:37], v[24:25], off
	;; [unrolled: 1-line block ×4, first 2 shown]
	s_waitcnt lgkmcnt(0)
	v_ashrrev_i32_e32 v9, 31, v28
	v_mov_b32_e32 v8, v28
	v_lshlrev_b64 v[8:9], 2, v[8:9]
	v_add_co_u32_e32 v8, vcc, v16, v8
	v_ashrrev_i32_e32 v25, 31, v29
	v_mov_b32_e32 v24, v29
	v_addc_co_u32_e32 v9, vcc, v17, v9, vcc
	v_lshlrev_b64 v[24:25], 2, v[24:25]
	v_add_co_u32_e32 v24, vcc, v16, v24
	v_ashrrev_i32_e32 v27, 31, v30
	v_mov_b32_e32 v26, v30
	v_addc_co_u32_e32 v25, vcc, v17, v25, vcc
	v_lshlrev_b64 v[26:27], 2, v[26:27]
	v_add_co_u32_e32 v26, vcc, v16, v26
	v_addc_co_u32_e32 v27, vcc, v17, v27, vcc
	global_load_dwordx2 v[32:33], v[8:9], off
	global_load_dwordx2 v[42:43], v[24:25], off
	;; [unrolled: 1-line block ×3, first 2 shown]
	v_ashrrev_i32_e32 v9, 31, v31
	v_mov_b32_e32 v8, v31
	v_lshlrev_b64 v[8:9], 2, v[8:9]
	v_add_co_u32_e32 v8, vcc, v16, v8
	v_addc_co_u32_e32 v9, vcc, v17, v9, vcc
	global_load_dwordx2 v[8:9], v[8:9], off
	ds_read2_b64 v[24:27], v15 offset1:3
	ds_read2_b64 v[28:31], v15 offset0:6 offset1:9
	ds_read2_b32 v[46:47], v15 offset0:3 offset1:4
	s_waitcnt vmcnt(7) lgkmcnt(2)
	v_fmac_f32_e32 v3, v24, v34
	v_fmac_f32_e32 v3, v25, v35
	s_waitcnt vmcnt(6) lgkmcnt(0)
	v_fmac_f32_e32 v3, v46, v36
	ds_read2_b32 v[24:25], v15 offset0:9 offset1:10
	ds_read2_b32 v[34:35], v15 offset0:15 offset1:16
	;; [unrolled: 1-line block ×3, first 2 shown]
	v_fmac_f32_e32 v3, v47, v37
	s_waitcnt vmcnt(5)
	v_fmac_f32_e32 v3, v26, v38
	v_fmac_f32_e32 v3, v27, v39
	s_waitcnt vmcnt(4) lgkmcnt(2)
	v_fmac_f32_e32 v3, v24, v40
	v_fmac_f32_e32 v3, v25, v41
	s_waitcnt vmcnt(3)
	v_fmac_f32_e32 v3, v28, v32
	v_fmac_f32_e32 v3, v29, v33
	s_waitcnt vmcnt(2) lgkmcnt(1)
	v_fmac_f32_e32 v3, v34, v42
	;; [unrolled: 6-line block ×3, first 2 shown]
	v_fmac_f32_e32 v3, v49, v9
	s_branch .LBB0_10
.LBB0_15:                               ;   in Loop: Header=BB0_8 Depth=1
	s_or_b64 exec, exec, s[22:23]
.LBB0_16:                               ;   in Loop: Header=BB0_8 Depth=1
	s_or_b64 exec, exec, s[18:19]
	s_and_saveexec_b64 s[18:19], s[0:1]
	s_cbranch_execz .LBB0_7
; %bb.17:                               ;   in Loop: Header=BB0_8 Depth=1
	v_mul_f32_e32 v0, s2, v3
	s_mov_b64 s[22:23], -1
	s_and_b64 vcc, exec, s[6:7]
	s_cbranch_vccz .LBB0_23
; %bb.18:                               ;   in Loop: Header=BB0_8 Depth=1
	s_and_b64 vcc, exec, s[4:5]
	s_cbranch_vccz .LBB0_20
; %bb.19:                               ;   in Loop: Header=BB0_8 Depth=1
	global_load_dword v3, v[4:5], off
	s_mov_b64 s[22:23], 0
	s_waitcnt vmcnt(0)
	v_fma_f32 v3, s28, v3, v0
	global_store_dword v[4:5], v3, off
.LBB0_20:                               ;   in Loop: Header=BB0_8 Depth=1
	s_andn2_b64 vcc, exec, s[22:23]
	s_cbranch_vccnz .LBB0_22
; %bb.21:                               ;   in Loop: Header=BB0_8 Depth=1
	global_load_dword v3, v[6:7], off
	s_waitcnt vmcnt(0)
	v_fma_f32 v3, s28, v3, v0
	global_store_dword v[6:7], v3, off
.LBB0_22:                               ;   in Loop: Header=BB0_8 Depth=1
	s_mov_b64 s[22:23], 0
.LBB0_23:                               ;   in Loop: Header=BB0_8 Depth=1
	s_andn2_b64 vcc, exec, s[22:23]
	s_cbranch_vccnz .LBB0_7
; %bb.24:                               ;   in Loop: Header=BB0_8 Depth=1
	s_mov_b64 s[22:23], -1
	s_and_b64 vcc, exec, s[4:5]
	s_cbranch_vccz .LBB0_26
; %bb.25:                               ;   in Loop: Header=BB0_8 Depth=1
	global_store_dword v[4:5], v0, off
	s_mov_b64 s[22:23], 0
.LBB0_26:                               ;   in Loop: Header=BB0_8 Depth=1
	s_andn2_b64 vcc, exec, s[22:23]
	s_cbranch_vccnz .LBB0_7
; %bb.27:                               ;   in Loop: Header=BB0_8 Depth=1
	global_store_dword v[6:7], v0, off
	s_branch .LBB0_7
.LBB0_28:
	s_endpgm
	.section	.rodata,"a",@progbits
	.p2align	6, 0x0
	.amdhsa_kernel _ZN9rocsparseL29bsrmmnn_small_blockdim_kernelILj64ELj8ELj2EiiffffEEv20rocsparse_direction_T3_S2_llNS_24const_host_device_scalarIT7_EEPKT2_PKS2_PKT4_PKT5_llS5_PT6_ll16rocsparse_order_21rocsparse_index_base_b
		.amdhsa_group_segment_fixed_size 1024
		.amdhsa_private_segment_fixed_size 0
		.amdhsa_kernarg_size 392
		.amdhsa_user_sgpr_count 6
		.amdhsa_user_sgpr_private_segment_buffer 1
		.amdhsa_user_sgpr_dispatch_ptr 0
		.amdhsa_user_sgpr_queue_ptr 0
		.amdhsa_user_sgpr_kernarg_segment_ptr 1
		.amdhsa_user_sgpr_dispatch_id 0
		.amdhsa_user_sgpr_flat_scratch_init 0
		.amdhsa_user_sgpr_kernarg_preload_length 0
		.amdhsa_user_sgpr_kernarg_preload_offset 0
		.amdhsa_user_sgpr_private_segment_size 0
		.amdhsa_uses_dynamic_stack 0
		.amdhsa_system_sgpr_private_segment_wavefront_offset 0
		.amdhsa_system_sgpr_workgroup_id_x 1
		.amdhsa_system_sgpr_workgroup_id_y 1
		.amdhsa_system_sgpr_workgroup_id_z 0
		.amdhsa_system_sgpr_workgroup_info 0
		.amdhsa_system_vgpr_workitem_id 0
		.amdhsa_next_free_vgpr 50
		.amdhsa_next_free_sgpr 30
		.amdhsa_accum_offset 52
		.amdhsa_reserve_vcc 1
		.amdhsa_reserve_flat_scratch 0
		.amdhsa_float_round_mode_32 0
		.amdhsa_float_round_mode_16_64 0
		.amdhsa_float_denorm_mode_32 3
		.amdhsa_float_denorm_mode_16_64 3
		.amdhsa_dx10_clamp 1
		.amdhsa_ieee_mode 1
		.amdhsa_fp16_overflow 0
		.amdhsa_tg_split 0
		.amdhsa_exception_fp_ieee_invalid_op 0
		.amdhsa_exception_fp_denorm_src 0
		.amdhsa_exception_fp_ieee_div_zero 0
		.amdhsa_exception_fp_ieee_overflow 0
		.amdhsa_exception_fp_ieee_underflow 0
		.amdhsa_exception_fp_ieee_inexact 0
		.amdhsa_exception_int_div_zero 0
	.end_amdhsa_kernel
	.section	.text._ZN9rocsparseL29bsrmmnn_small_blockdim_kernelILj64ELj8ELj2EiiffffEEv20rocsparse_direction_T3_S2_llNS_24const_host_device_scalarIT7_EEPKT2_PKS2_PKT4_PKT5_llS5_PT6_ll16rocsparse_order_21rocsparse_index_base_b,"axG",@progbits,_ZN9rocsparseL29bsrmmnn_small_blockdim_kernelILj64ELj8ELj2EiiffffEEv20rocsparse_direction_T3_S2_llNS_24const_host_device_scalarIT7_EEPKT2_PKS2_PKT4_PKT5_llS5_PT6_ll16rocsparse_order_21rocsparse_index_base_b,comdat
.Lfunc_end0:
	.size	_ZN9rocsparseL29bsrmmnn_small_blockdim_kernelILj64ELj8ELj2EiiffffEEv20rocsparse_direction_T3_S2_llNS_24const_host_device_scalarIT7_EEPKT2_PKS2_PKT4_PKT5_llS5_PT6_ll16rocsparse_order_21rocsparse_index_base_b, .Lfunc_end0-_ZN9rocsparseL29bsrmmnn_small_blockdim_kernelILj64ELj8ELj2EiiffffEEv20rocsparse_direction_T3_S2_llNS_24const_host_device_scalarIT7_EEPKT2_PKS2_PKT4_PKT5_llS5_PT6_ll16rocsparse_order_21rocsparse_index_base_b
                                        ; -- End function
	.section	.AMDGPU.csdata,"",@progbits
; Kernel info:
; codeLenInByte = 1460
; NumSgprs: 34
; NumVgprs: 50
; NumAgprs: 0
; TotalNumVgprs: 50
; ScratchSize: 0
; MemoryBound: 0
; FloatMode: 240
; IeeeMode: 1
; LDSByteSize: 1024 bytes/workgroup (compile time only)
; SGPRBlocks: 4
; VGPRBlocks: 6
; NumSGPRsForWavesPerEU: 34
; NumVGPRsForWavesPerEU: 50
; AccumOffset: 52
; Occupancy: 8
; WaveLimiterHint : 0
; COMPUTE_PGM_RSRC2:SCRATCH_EN: 0
; COMPUTE_PGM_RSRC2:USER_SGPR: 6
; COMPUTE_PGM_RSRC2:TRAP_HANDLER: 0
; COMPUTE_PGM_RSRC2:TGID_X_EN: 1
; COMPUTE_PGM_RSRC2:TGID_Y_EN: 1
; COMPUTE_PGM_RSRC2:TGID_Z_EN: 0
; COMPUTE_PGM_RSRC2:TIDIG_COMP_CNT: 0
; COMPUTE_PGM_RSRC3_GFX90A:ACCUM_OFFSET: 12
; COMPUTE_PGM_RSRC3_GFX90A:TG_SPLIT: 0
	.section	.text._ZN9rocsparseL29bsrmmnn_small_blockdim_kernelILj64ELj8ELj2EliffffEEv20rocsparse_direction_T3_S2_llNS_24const_host_device_scalarIT7_EEPKT2_PKS2_PKT4_PKT5_llS5_PT6_ll16rocsparse_order_21rocsparse_index_base_b,"axG",@progbits,_ZN9rocsparseL29bsrmmnn_small_blockdim_kernelILj64ELj8ELj2EliffffEEv20rocsparse_direction_T3_S2_llNS_24const_host_device_scalarIT7_EEPKT2_PKS2_PKT4_PKT5_llS5_PT6_ll16rocsparse_order_21rocsparse_index_base_b,comdat
	.globl	_ZN9rocsparseL29bsrmmnn_small_blockdim_kernelILj64ELj8ELj2EliffffEEv20rocsparse_direction_T3_S2_llNS_24const_host_device_scalarIT7_EEPKT2_PKS2_PKT4_PKT5_llS5_PT6_ll16rocsparse_order_21rocsparse_index_base_b ; -- Begin function _ZN9rocsparseL29bsrmmnn_small_blockdim_kernelILj64ELj8ELj2EliffffEEv20rocsparse_direction_T3_S2_llNS_24const_host_device_scalarIT7_EEPKT2_PKS2_PKT4_PKT5_llS5_PT6_ll16rocsparse_order_21rocsparse_index_base_b
	.p2align	8
	.type	_ZN9rocsparseL29bsrmmnn_small_blockdim_kernelILj64ELj8ELj2EliffffEEv20rocsparse_direction_T3_S2_llNS_24const_host_device_scalarIT7_EEPKT2_PKS2_PKT4_PKT5_llS5_PT6_ll16rocsparse_order_21rocsparse_index_base_b,@function
_ZN9rocsparseL29bsrmmnn_small_blockdim_kernelILj64ELj8ELj2EliffffEEv20rocsparse_direction_T3_S2_llNS_24const_host_device_scalarIT7_EEPKT2_PKS2_PKT4_PKT5_llS5_PT6_ll16rocsparse_order_21rocsparse_index_base_b: ; @_ZN9rocsparseL29bsrmmnn_small_blockdim_kernelILj64ELj8ELj2EliffffEEv20rocsparse_direction_T3_S2_llNS_24const_host_device_scalarIT7_EEPKT2_PKS2_PKT4_PKT5_llS5_PT6_ll16rocsparse_order_21rocsparse_index_base_b
; %bb.0:
	s_load_dwordx4 s[16:19], s[4:5], 0x78
	s_load_dwordx2 s[28:29], s[4:5], 0x20
	s_load_dwordx2 s[30:31], s[4:5], 0x58
	s_waitcnt lgkmcnt(0)
	s_bitcmp1_b32 s18, 0
	s_cselect_b64 s[2:3], -1, 0
	s_xor_b64 s[0:1], s[2:3], -1
	s_and_b64 vcc, exec, s[2:3]
	s_cbranch_vccnz .LBB1_2
; %bb.1:
	s_load_dword s28, s[28:29], 0x0
.LBB1_2:
	s_andn2_b64 vcc, exec, s[0:1]
	s_cbranch_vccnz .LBB1_4
; %bb.3:
	s_load_dword s30, s[30:31], 0x0
.LBB1_4:
	s_waitcnt lgkmcnt(0)
	v_cmp_eq_f32_e64 s[0:1], s28, 0
	v_cmp_eq_f32_e64 s[2:3], s30, 1.0
	s_and_b64 s[0:1], s[0:1], s[2:3]
	s_and_b64 vcc, exec, s[0:1]
	s_cbranch_vccnz .LBB1_28
; %bb.5:
	s_load_dword s0, s[4:5], 0x88
	s_load_dwordx4 s[20:23], s[4:5], 0x0
	s_add_u32 s1, s4, 0x88
	s_addc_u32 s3, s5, 0
	v_mov_b32_e32 v5, 0
	s_waitcnt lgkmcnt(0)
	s_cmp_lt_u32 s6, s0
	s_cselect_b32 s2, 12, 18
	s_add_u32 s2, s1, s2
	s_addc_u32 s3, s3, 0
	global_load_ushort v2, v5, s[2:3]
	s_waitcnt vmcnt(0)
	v_mul_lo_u32 v1, s6, v2
	v_add_u32_e32 v1, v1, v0
	v_lshrrev_b32_e32 v4, 4, v1
	v_cmp_gt_i32_e32 vcc, s21, v4
	s_and_saveexec_b64 s[2:3], vcc
	s_cbranch_execz .LBB1_28
; %bb.6:
	v_mul_lo_u32 v2, s0, v2
	s_load_dwordx4 s[24:27], s[4:5], 0x60
	s_load_dwordx2 s[0:1], s[4:5], 0x48
	v_and_b32_e32 v6, 7, v1
	v_lshrrev_b32_e32 v7, 4, v2
	v_lshl_or_b32 v2, s7, 3, v6
	v_ashrrev_i32_e32 v3, 31, v2
	v_lshlrev_b64 v[8:9], 2, v[2:3]
	s_load_dwordx8 s[8:15], s[4:5], 0x28
	s_waitcnt lgkmcnt(0)
	v_mov_b32_e32 v11, s25
	v_add_co_u32_e32 v12, vcc, s24, v8
	v_lshrrev_b32_e32 v10, 3, v0
	v_addc_co_u32_e32 v13, vcc, v11, v9, vcc
	v_lshrrev_b32_e32 v14, 3, v1
	v_bfe_u32 v15, v1, 3, 1
	v_mul_lo_u32 v8, v3, s0
	v_mul_lo_u32 v9, v2, s1
	v_mad_u64_u32 v[0:1], s[0:1], v2, s0, 0
	v_add3_u32 v1, v1, v9, v8
	v_mov_b32_e32 v8, 0x300
	v_lshl_or_b32 v18, v10, 5, v8
	v_mul_u32_u24_e32 v8, 3, v6
	v_lshlrev_b32_e32 v8, 2, v8
	s_movk_i32 s0, 0x60
	v_lshlrev_b64 v[0:1], 2, v[0:1]
	v_mad_u32_u24 v20, v10, s0, v8
	v_mov_b32_e32 v8, s15
	v_add_co_u32_e32 v22, vcc, s14, v0
	v_addc_co_u32_e32 v23, vcc, v8, v1, vcc
	v_mad_u64_u32 v[0:1], s[2:3], v14, s26, 0
	v_mov_b32_e32 v8, v1
	v_mad_u64_u32 v[8:9], s[2:3], v14, s27, v[8:9]
	v_mov_b32_e32 v1, v8
	v_lshlrev_b64 v[0:1], 2, v[0:1]
	v_add_co_u32_e32 v8, vcc, v12, v0
	v_mul_u32_u24_e32 v21, 0x60, v10
	v_addc_co_u32_e32 v9, vcc, v13, v1, vcc
	v_mul_lo_u32 v3, v3, s26
	v_mul_lo_u32 v10, v2, s27
	v_mad_u64_u32 v[0:1], s[2:3], v2, s26, 0
	v_add3_u32 v1, v1, v10, v3
	s_cmp_lg_u32 s16, 1
	v_lshlrev_b64 v[0:1], 2, v[0:1]
	s_cselect_b64 s[4:5], -1, 0
	s_cmp_eq_u32 s20, 0
	v_add_co_u32_e32 v0, vcc, s24, v0
	v_cmp_gt_i32_e64 s[0:1], s22, v2
	v_addc_co_u32_e32 v1, vcc, v11, v1, vcc
	v_lshlrev_b32_e32 v2, 2, v14
	s_cselect_b64 s[2:3], -1, 0
	v_add_co_u32_e32 v10, vcc, v0, v2
	v_cndmask_b32_e64 v0, 0, 1, s[2:3]
	v_addc_co_u32_e32 v11, vcc, 0, v1, vcc
	v_lshlrev_b32_e32 v0, v0, v15
	v_subrev_co_u32_e32 v24, vcc, s17, v6
	v_lshlrev_b32_e32 v1, 2, v0
	s_and_b64 s[2:3], s[2:3], exec
	v_subb_co_u32_e64 v25, s[2:3], 0, 0, vcc
	v_mov_b32_e32 v2, s13
	v_add_co_u32_e32 v26, vcc, s12, v1
	s_cselect_b32 s14, 1, 2
	v_addc_co_u32_e32 v27, vcc, 0, v2, vcc
	v_add_co_u32_e32 v28, vcc, s14, v0
	s_mov_b32 s25, 0
	s_mov_b32 s29, s17
	v_lshl_or_b32 v19, v6, 2, v18
	v_cmp_neq_f32_e64 s[6:7], s30, 0
	v_addc_co_u32_e64 v29, s[2:3], 0, 0, vcc
	s_mov_b64 s[14:15], 0
	v_mov_b32_e32 v30, s9
	s_branch .LBB1_8
.LBB1_7:                                ;   in Loop: Header=BB1_8 Depth=1
	s_or_b64 exec, exec, s[2:3]
	v_add_u32_e32 v4, v4, v7
	v_cmp_le_i32_e32 vcc, s21, v4
	s_or_b64 s[14:15], vcc, s[14:15]
	s_andn2_b64 exec, exec, s[14:15]
	s_cbranch_execz .LBB1_28
.LBB1_8:                                ; =>This Loop Header: Depth=1
                                        ;     Child Loop BB1_11 Depth 2
	v_lshlrev_b64 v[0:1], 3, v[4:5]
	v_add_co_u32_e32 v0, vcc, s8, v0
	v_addc_co_u32_e32 v1, vcc, v30, v1, vcc
	global_load_dwordx4 v[0:3], v[0:1], off
	v_mov_b32_e32 v31, 0
	s_waitcnt vmcnt(0)
	v_cmp_lt_i64_e32 vcc, v[0:1], v[2:3]
	s_and_saveexec_b64 s[18:19], vcc
	s_cbranch_execz .LBB1_16
; %bb.9:                                ;   in Loop: Header=BB1_8 Depth=1
	v_mov_b32_e32 v13, s25
	v_subrev_co_u32_e32 v2, vcc, s29, v2
	v_subb_co_u32_e32 v3, vcc, v3, v13, vcc
	v_subrev_co_u32_e32 v12, vcc, s29, v0
	v_subb_co_u32_e32 v13, vcc, v1, v13, vcc
	v_add_co_u32_e32 v14, vcc, v24, v0
	v_addc_co_u32_e32 v15, vcc, v25, v1, vcc
	v_lshlrev_b64 v[16:17], 2, v[14:15]
	v_mov_b32_e32 v1, s11
	v_add_co_u32_e32 v0, vcc, s10, v16
	v_addc_co_u32_e32 v1, vcc, v1, v17, vcc
	v_lshlrev_b64 v[14:15], 4, v[14:15]
	v_add_co_u32_e32 v14, vcc, v26, v14
	v_addc_co_u32_e32 v15, vcc, v27, v15, vcc
	v_add_co_u32_e32 v16, vcc, v28, v16
	v_addc_co_u32_e32 v17, vcc, v29, v17, vcc
	v_lshlrev_b64 v[16:17], 2, v[16:17]
	v_mov_b32_e32 v31, s13
	v_add_co_u32_e32 v16, vcc, s12, v16
	v_addc_co_u32_e32 v17, vcc, v31, v17, vcc
	s_mov_b64 s[22:23], 0
	v_mov_b32_e32 v31, 0
	s_branch .LBB1_11
.LBB1_10:                               ;   in Loop: Header=BB1_11 Depth=2
	s_or_b64 exec, exec, s[2:3]
	v_add_co_u32_e32 v12, vcc, 8, v12
	v_addc_co_u32_e32 v13, vcc, 0, v13, vcc
	v_add_co_u32_e32 v0, vcc, 32, v0
	v_addc_co_u32_e32 v1, vcc, 0, v1, vcc
	;; [unrolled: 2-line block ×3, first 2 shown]
	v_add_co_u32_e32 v16, vcc, 0x80, v16
	v_cmp_ge_i64_e64 s[2:3], v[12:13], v[2:3]
	s_or_b64 s[22:23], s[2:3], s[22:23]
	v_addc_co_u32_e32 v17, vcc, 0, v17, vcc
	s_andn2_b64 exec, exec, s[22:23]
	s_cbranch_execz .LBB1_15
.LBB1_11:                               ;   Parent Loop BB1_8 Depth=1
                                        ; =>  This Inner Loop Header: Depth=2
	v_add_co_u32_e32 v32, vcc, v6, v12
	v_addc_co_u32_e32 v33, vcc, 0, v13, vcc
	v_cmp_lt_i64_e32 vcc, v[32:33], v[2:3]
	v_mov_b32_e32 v34, 0
	v_mov_b32_e32 v32, 0
	;; [unrolled: 1-line block ×3, first 2 shown]
	s_and_saveexec_b64 s[2:3], vcc
	s_cbranch_execz .LBB1_13
; %bb.12:                               ;   in Loop: Header=BB1_11 Depth=2
	global_load_dword v34, v[0:1], off
	global_load_dword v32, v[14:15], off
	;; [unrolled: 1-line block ×3, first 2 shown]
	s_waitcnt vmcnt(2)
	v_subrev_u32_e32 v34, s17, v34
	v_lshlrev_b32_e32 v34, 1, v34
.LBB1_13:                               ;   in Loop: Header=BB1_11 Depth=2
	s_or_b64 exec, exec, s[2:3]
	ds_write_b32 v19, v34
	s_waitcnt vmcnt(0)
	ds_write2_b32 v20, v32, v33 offset1:1
	s_waitcnt lgkmcnt(0)
	; wave barrier
	s_waitcnt lgkmcnt(0)
	s_and_saveexec_b64 s[2:3], s[0:1]
	s_cbranch_execz .LBB1_10
; %bb.14:                               ;   in Loop: Header=BB1_11 Depth=2
	ds_read_b128 v[32:35], v18
	ds_read_b128 v[36:39], v18 offset:16
	s_waitcnt lgkmcnt(1)
	v_ashrrev_i32_e32 v41, 31, v32
	v_mov_b32_e32 v40, v32
	v_lshlrev_b64 v[40:41], 2, v[40:41]
	v_add_co_u32_e32 v40, vcc, v22, v40
	v_ashrrev_i32_e32 v43, 31, v33
	v_mov_b32_e32 v42, v33
	v_addc_co_u32_e32 v41, vcc, v23, v41, vcc
	v_lshlrev_b64 v[32:33], 2, v[42:43]
	v_add_co_u32_e32 v32, vcc, v22, v32
	v_ashrrev_i32_e32 v43, 31, v34
	v_mov_b32_e32 v42, v34
	v_addc_co_u32_e32 v33, vcc, v23, v33, vcc
	;; [unrolled: 5-line block ×3, first 2 shown]
	v_lshlrev_b64 v[34:35], 2, v[44:45]
	v_add_co_u32_e32 v34, vcc, v22, v34
	v_addc_co_u32_e32 v35, vcc, v23, v35, vcc
	global_load_dwordx2 v[44:45], v[40:41], off
	global_load_dwordx2 v[46:47], v[32:33], off
	;; [unrolled: 1-line block ×4, first 2 shown]
	s_waitcnt lgkmcnt(0)
	v_ashrrev_i32_e32 v33, 31, v36
	v_mov_b32_e32 v32, v36
	v_lshlrev_b64 v[32:33], 2, v[32:33]
	v_add_co_u32_e32 v32, vcc, v22, v32
	v_ashrrev_i32_e32 v35, 31, v37
	v_mov_b32_e32 v34, v37
	v_addc_co_u32_e32 v33, vcc, v23, v33, vcc
	v_lshlrev_b64 v[34:35], 2, v[34:35]
	v_add_co_u32_e32 v34, vcc, v22, v34
	v_ashrrev_i32_e32 v37, 31, v38
	v_mov_b32_e32 v36, v38
	v_addc_co_u32_e32 v35, vcc, v23, v35, vcc
	v_lshlrev_b64 v[36:37], 2, v[36:37]
	v_add_co_u32_e32 v36, vcc, v22, v36
	v_addc_co_u32_e32 v37, vcc, v23, v37, vcc
	global_load_dwordx2 v[40:41], v[32:33], off
	global_load_dwordx2 v[42:43], v[34:35], off
	;; [unrolled: 1-line block ×3, first 2 shown]
	v_ashrrev_i32_e32 v33, 31, v39
	v_mov_b32_e32 v32, v39
	v_lshlrev_b64 v[32:33], 2, v[32:33]
	v_add_co_u32_e32 v32, vcc, v22, v32
	v_addc_co_u32_e32 v33, vcc, v23, v33, vcc
	global_load_dwordx2 v[54:55], v[32:33], off
	ds_read2_b64 v[32:35], v21 offset1:3
	ds_read2_b64 v[36:39], v21 offset0:6 offset1:9
	ds_read2_b32 v[56:57], v21 offset0:3 offset1:4
	s_waitcnt vmcnt(7) lgkmcnt(2)
	v_fmac_f32_e32 v31, v32, v44
	v_fmac_f32_e32 v31, v33, v45
	s_waitcnt vmcnt(6) lgkmcnt(0)
	v_fmac_f32_e32 v31, v56, v46
	ds_read2_b32 v[32:33], v21 offset0:9 offset1:10
	ds_read2_b32 v[44:45], v21 offset0:15 offset1:16
	;; [unrolled: 1-line block ×3, first 2 shown]
	v_fmac_f32_e32 v31, v57, v47
	s_waitcnt vmcnt(5)
	v_fmac_f32_e32 v31, v34, v48
	v_fmac_f32_e32 v31, v35, v49
	s_waitcnt vmcnt(4) lgkmcnt(2)
	v_fmac_f32_e32 v31, v32, v50
	v_fmac_f32_e32 v31, v33, v51
	s_waitcnt vmcnt(3)
	v_fmac_f32_e32 v31, v36, v40
	v_fmac_f32_e32 v31, v37, v41
	s_waitcnt vmcnt(2) lgkmcnt(1)
	v_fmac_f32_e32 v31, v44, v42
	;; [unrolled: 6-line block ×3, first 2 shown]
	v_fmac_f32_e32 v31, v59, v55
	s_branch .LBB1_10
.LBB1_15:                               ;   in Loop: Header=BB1_8 Depth=1
	s_or_b64 exec, exec, s[22:23]
.LBB1_16:                               ;   in Loop: Header=BB1_8 Depth=1
	s_or_b64 exec, exec, s[18:19]
	s_and_saveexec_b64 s[2:3], s[0:1]
	s_cbranch_execz .LBB1_7
; %bb.17:                               ;   in Loop: Header=BB1_8 Depth=1
	v_mul_f32_e32 v0, s28, v31
	s_mov_b64 s[18:19], -1
	s_and_b64 vcc, exec, s[6:7]
	s_cbranch_vccz .LBB1_23
; %bb.18:                               ;   in Loop: Header=BB1_8 Depth=1
	s_and_b64 vcc, exec, s[4:5]
	s_cbranch_vccz .LBB1_20
; %bb.19:                               ;   in Loop: Header=BB1_8 Depth=1
	global_load_dword v1, v[8:9], off
	s_mov_b64 s[18:19], 0
	s_waitcnt vmcnt(0)
	v_fma_f32 v1, s30, v1, v0
	global_store_dword v[8:9], v1, off
.LBB1_20:                               ;   in Loop: Header=BB1_8 Depth=1
	s_andn2_b64 vcc, exec, s[18:19]
	s_cbranch_vccnz .LBB1_22
; %bb.21:                               ;   in Loop: Header=BB1_8 Depth=1
	global_load_dword v1, v[10:11], off
	s_waitcnt vmcnt(0)
	v_fma_f32 v1, s30, v1, v0
	global_store_dword v[10:11], v1, off
.LBB1_22:                               ;   in Loop: Header=BB1_8 Depth=1
	s_mov_b64 s[18:19], 0
.LBB1_23:                               ;   in Loop: Header=BB1_8 Depth=1
	s_andn2_b64 vcc, exec, s[18:19]
	s_cbranch_vccnz .LBB1_7
; %bb.24:                               ;   in Loop: Header=BB1_8 Depth=1
	s_mov_b64 s[18:19], -1
	s_and_b64 vcc, exec, s[4:5]
	s_cbranch_vccz .LBB1_26
; %bb.25:                               ;   in Loop: Header=BB1_8 Depth=1
	global_store_dword v[8:9], v0, off
	s_mov_b64 s[18:19], 0
.LBB1_26:                               ;   in Loop: Header=BB1_8 Depth=1
	s_andn2_b64 vcc, exec, s[18:19]
	s_cbranch_vccnz .LBB1_7
; %bb.27:                               ;   in Loop: Header=BB1_8 Depth=1
	global_store_dword v[10:11], v0, off
	s_branch .LBB1_7
.LBB1_28:
	s_endpgm
	.section	.rodata,"a",@progbits
	.p2align	6, 0x0
	.amdhsa_kernel _ZN9rocsparseL29bsrmmnn_small_blockdim_kernelILj64ELj8ELj2EliffffEEv20rocsparse_direction_T3_S2_llNS_24const_host_device_scalarIT7_EEPKT2_PKS2_PKT4_PKT5_llS5_PT6_ll16rocsparse_order_21rocsparse_index_base_b
		.amdhsa_group_segment_fixed_size 1024
		.amdhsa_private_segment_fixed_size 0
		.amdhsa_kernarg_size 392
		.amdhsa_user_sgpr_count 6
		.amdhsa_user_sgpr_private_segment_buffer 1
		.amdhsa_user_sgpr_dispatch_ptr 0
		.amdhsa_user_sgpr_queue_ptr 0
		.amdhsa_user_sgpr_kernarg_segment_ptr 1
		.amdhsa_user_sgpr_dispatch_id 0
		.amdhsa_user_sgpr_flat_scratch_init 0
		.amdhsa_user_sgpr_kernarg_preload_length 0
		.amdhsa_user_sgpr_kernarg_preload_offset 0
		.amdhsa_user_sgpr_private_segment_size 0
		.amdhsa_uses_dynamic_stack 0
		.amdhsa_system_sgpr_private_segment_wavefront_offset 0
		.amdhsa_system_sgpr_workgroup_id_x 1
		.amdhsa_system_sgpr_workgroup_id_y 1
		.amdhsa_system_sgpr_workgroup_id_z 0
		.amdhsa_system_sgpr_workgroup_info 0
		.amdhsa_system_vgpr_workitem_id 0
		.amdhsa_next_free_vgpr 60
		.amdhsa_next_free_sgpr 32
		.amdhsa_accum_offset 60
		.amdhsa_reserve_vcc 1
		.amdhsa_reserve_flat_scratch 0
		.amdhsa_float_round_mode_32 0
		.amdhsa_float_round_mode_16_64 0
		.amdhsa_float_denorm_mode_32 3
		.amdhsa_float_denorm_mode_16_64 3
		.amdhsa_dx10_clamp 1
		.amdhsa_ieee_mode 1
		.amdhsa_fp16_overflow 0
		.amdhsa_tg_split 0
		.amdhsa_exception_fp_ieee_invalid_op 0
		.amdhsa_exception_fp_denorm_src 0
		.amdhsa_exception_fp_ieee_div_zero 0
		.amdhsa_exception_fp_ieee_overflow 0
		.amdhsa_exception_fp_ieee_underflow 0
		.amdhsa_exception_fp_ieee_inexact 0
		.amdhsa_exception_int_div_zero 0
	.end_amdhsa_kernel
	.section	.text._ZN9rocsparseL29bsrmmnn_small_blockdim_kernelILj64ELj8ELj2EliffffEEv20rocsparse_direction_T3_S2_llNS_24const_host_device_scalarIT7_EEPKT2_PKS2_PKT4_PKT5_llS5_PT6_ll16rocsparse_order_21rocsparse_index_base_b,"axG",@progbits,_ZN9rocsparseL29bsrmmnn_small_blockdim_kernelILj64ELj8ELj2EliffffEEv20rocsparse_direction_T3_S2_llNS_24const_host_device_scalarIT7_EEPKT2_PKS2_PKT4_PKT5_llS5_PT6_ll16rocsparse_order_21rocsparse_index_base_b,comdat
.Lfunc_end1:
	.size	_ZN9rocsparseL29bsrmmnn_small_blockdim_kernelILj64ELj8ELj2EliffffEEv20rocsparse_direction_T3_S2_llNS_24const_host_device_scalarIT7_EEPKT2_PKS2_PKT4_PKT5_llS5_PT6_ll16rocsparse_order_21rocsparse_index_base_b, .Lfunc_end1-_ZN9rocsparseL29bsrmmnn_small_blockdim_kernelILj64ELj8ELj2EliffffEEv20rocsparse_direction_T3_S2_llNS_24const_host_device_scalarIT7_EEPKT2_PKS2_PKT4_PKT5_llS5_PT6_ll16rocsparse_order_21rocsparse_index_base_b
                                        ; -- End function
	.section	.AMDGPU.csdata,"",@progbits
; Kernel info:
; codeLenInByte = 1544
; NumSgprs: 36
; NumVgprs: 60
; NumAgprs: 0
; TotalNumVgprs: 60
; ScratchSize: 0
; MemoryBound: 0
; FloatMode: 240
; IeeeMode: 1
; LDSByteSize: 1024 bytes/workgroup (compile time only)
; SGPRBlocks: 4
; VGPRBlocks: 7
; NumSGPRsForWavesPerEU: 36
; NumVGPRsForWavesPerEU: 60
; AccumOffset: 60
; Occupancy: 8
; WaveLimiterHint : 0
; COMPUTE_PGM_RSRC2:SCRATCH_EN: 0
; COMPUTE_PGM_RSRC2:USER_SGPR: 6
; COMPUTE_PGM_RSRC2:TRAP_HANDLER: 0
; COMPUTE_PGM_RSRC2:TGID_X_EN: 1
; COMPUTE_PGM_RSRC2:TGID_Y_EN: 1
; COMPUTE_PGM_RSRC2:TGID_Z_EN: 0
; COMPUTE_PGM_RSRC2:TIDIG_COMP_CNT: 0
; COMPUTE_PGM_RSRC3_GFX90A:ACCUM_OFFSET: 14
; COMPUTE_PGM_RSRC3_GFX90A:TG_SPLIT: 0
	.section	.text._ZN9rocsparseL29bsrmmnn_small_blockdim_kernelILj64ELj8ELj2EllffffEEv20rocsparse_direction_T3_S2_llNS_24const_host_device_scalarIT7_EEPKT2_PKS2_PKT4_PKT5_llS5_PT6_ll16rocsparse_order_21rocsparse_index_base_b,"axG",@progbits,_ZN9rocsparseL29bsrmmnn_small_blockdim_kernelILj64ELj8ELj2EllffffEEv20rocsparse_direction_T3_S2_llNS_24const_host_device_scalarIT7_EEPKT2_PKS2_PKT4_PKT5_llS5_PT6_ll16rocsparse_order_21rocsparse_index_base_b,comdat
	.globl	_ZN9rocsparseL29bsrmmnn_small_blockdim_kernelILj64ELj8ELj2EllffffEEv20rocsparse_direction_T3_S2_llNS_24const_host_device_scalarIT7_EEPKT2_PKS2_PKT4_PKT5_llS5_PT6_ll16rocsparse_order_21rocsparse_index_base_b ; -- Begin function _ZN9rocsparseL29bsrmmnn_small_blockdim_kernelILj64ELj8ELj2EllffffEEv20rocsparse_direction_T3_S2_llNS_24const_host_device_scalarIT7_EEPKT2_PKS2_PKT4_PKT5_llS5_PT6_ll16rocsparse_order_21rocsparse_index_base_b
	.p2align	8
	.type	_ZN9rocsparseL29bsrmmnn_small_blockdim_kernelILj64ELj8ELj2EllffffEEv20rocsparse_direction_T3_S2_llNS_24const_host_device_scalarIT7_EEPKT2_PKS2_PKT4_PKT5_llS5_PT6_ll16rocsparse_order_21rocsparse_index_base_b,@function
_ZN9rocsparseL29bsrmmnn_small_blockdim_kernelILj64ELj8ELj2EllffffEEv20rocsparse_direction_T3_S2_llNS_24const_host_device_scalarIT7_EEPKT2_PKS2_PKT4_PKT5_llS5_PT6_ll16rocsparse_order_21rocsparse_index_base_b: ; @_ZN9rocsparseL29bsrmmnn_small_blockdim_kernelILj64ELj8ELj2EllffffEEv20rocsparse_direction_T3_S2_llNS_24const_host_device_scalarIT7_EEPKT2_PKS2_PKT4_PKT5_llS5_PT6_ll16rocsparse_order_21rocsparse_index_base_b
; %bb.0:
	s_load_dwordx4 s[20:23], s[4:5], 0x80
	s_load_dwordx2 s[28:29], s[4:5], 0x28
	s_load_dwordx2 s[30:31], s[4:5], 0x60
	s_waitcnt lgkmcnt(0)
	s_bitcmp1_b32 s22, 0
	s_cselect_b64 s[2:3], -1, 0
	s_xor_b64 s[0:1], s[2:3], -1
	s_and_b64 vcc, exec, s[2:3]
	s_cbranch_vccnz .LBB2_2
; %bb.1:
	s_load_dword s28, s[28:29], 0x0
.LBB2_2:
	s_andn2_b64 vcc, exec, s[0:1]
	s_cbranch_vccnz .LBB2_4
; %bb.3:
	s_load_dword s30, s[30:31], 0x0
.LBB2_4:
	s_waitcnt lgkmcnt(0)
	v_cmp_eq_f32_e64 s[0:1], s28, 0
	v_cmp_eq_f32_e64 s[2:3], s30, 1.0
	s_and_b64 s[0:1], s[0:1], s[2:3]
	s_and_b64 vcc, exec, s[0:1]
	s_cbranch_vccnz .LBB2_28
; %bb.5:
	s_load_dword s0, s[4:5], 0x90
	s_load_dwordx4 s[16:19], s[4:5], 0x8
	s_add_u32 s1, s4, 0x90
	s_addc_u32 s3, s5, 0
	v_mov_b32_e32 v5, 0
	s_waitcnt lgkmcnt(0)
	s_cmp_lt_u32 s6, s0
	s_cselect_b32 s2, 12, 18
	s_add_u32 s2, s1, s2
	s_addc_u32 s3, s3, 0
	global_load_ushort v2, v5, s[2:3]
	s_mov_b32 s22, 0
	s_waitcnt vmcnt(0)
	v_mul_lo_u32 v1, s6, v2
	v_add_u32_e32 v1, v1, v0
	v_lshrrev_b32_e32 v4, 4, v1
	v_cmp_gt_i64_e32 vcc, s[16:17], v[4:5]
	s_and_saveexec_b64 s[2:3], vcc
	s_cbranch_execz .LBB2_28
; %bb.6:
	s_load_dwordx8 s[8:15], s[4:5], 0x30
	s_load_dwordx4 s[24:27], s[4:5], 0x68
	s_load_dwordx2 s[2:3], s[4:5], 0x50
	v_and_b32_e32 v6, 7, v1
	v_mul_lo_u32 v2, s0, v2
	v_lshrrev_b32_e32 v7, 4, v2
	v_lshl_or_b32 v2, s7, 3, v6
	s_waitcnt lgkmcnt(0)
	v_mad_u64_u32 v[12:13], s[0:1], v2, s2, 0
	v_mov_b32_e32 v8, v13
	v_mad_u64_u32 v[8:9], s[0:1], v2, s3, v[8:9]
	s_load_dword s0, s[4:5], 0x0
	v_mov_b32_e32 v3, v5
	v_mov_b32_e32 v13, v8
	v_lshrrev_b32_e32 v11, 3, v1
	v_bfe_u32 v14, v1, 3, 1
	v_lshrrev_b32_e32 v8, 3, v0
	v_lshlrev_b64 v[0:1], 2, v[2:3]
	v_add_co_u32_e32 v10, vcc, s24, v0
	v_mov_b32_e32 v0, 0x300
	v_lshl_add_u32 v20, v8, 6, v0
	s_cmp_lg_u32 s20, 1
	v_mul_u32_u24_e32 v0, 3, v6
	v_mov_b32_e32 v16, s25
	s_cselect_b64 s[4:5], -1, 0
	s_waitcnt lgkmcnt(0)
	s_cmp_eq_u32 s0, 0
	v_lshlrev_b32_e32 v0, 2, v0
	s_movk_i32 s0, 0x60
	v_addc_co_u32_e32 v17, vcc, v16, v1, vcc
	v_mad_u32_u24 v22, v8, s0, v0
	v_mad_u64_u32 v[0:1], s[2:3], v11, s26, 0
	v_mul_u32_u24_e32 v23, 0x60, v8
	v_mov_b32_e32 v8, v1
	v_mad_u64_u32 v[8:9], s[2:3], v11, s27, v[8:9]
	v_mov_b32_e32 v1, v8
	v_lshlrev_b64 v[0:1], 2, v[0:1]
	v_add_co_u32_e32 v8, vcc, v10, v0
	v_addc_co_u32_e32 v9, vcc, v17, v1, vcc
	v_mad_u64_u32 v[0:1], s[2:3], v2, s26, 0
	v_mov_b32_e32 v10, v1
	v_cmp_gt_i64_e64 s[0:1], s[18:19], v[2:3]
	v_mad_u64_u32 v[2:3], s[2:3], v2, s27, v[10:11]
	v_mov_b32_e32 v1, v2
	v_lshlrev_b32_e32 v2, 2, v11
	v_add_co_u32_e32 v2, vcc, s24, v2
	v_addc_co_u32_e32 v3, vcc, 0, v16, vcc
	v_lshlrev_b64 v[0:1], 2, v[0:1]
	v_add_co_u32_e32 v10, vcc, v2, v0
	v_addc_co_u32_e32 v11, vcc, v3, v1, vcc
	s_cselect_b64 s[2:3], -1, 0
	v_lshlrev_b64 v[2:3], 2, v[12:13]
	v_mov_b32_e32 v15, v5
	v_cndmask_b32_e64 v0, 0, 1, s[2:3]
	v_mov_b32_e32 v12, s15
	v_add_co_u32_e32 v24, vcc, s14, v2
	v_lshlrev_b64 v[0:1], v0, v[14:15]
	v_addc_co_u32_e32 v25, vcc, v12, v3, vcc
	v_subrev_co_u32_e32 v26, vcc, s21, v6
	v_lshlrev_b64 v[2:3], 2, v[0:1]
	s_and_b64 s[2:3], s[2:3], exec
	v_subb_co_u32_e64 v27, s[2:3], 0, 0, vcc
	v_mov_b32_e32 v12, s13
	v_add_co_u32_e32 v28, vcc, s12, v2
	s_cselect_b32 s18, 1, 2
	v_addc_co_u32_e32 v29, vcc, v12, v3, vcc
	v_add_co_u32_e32 v30, vcc, s18, v0
	s_mov_b32 s23, s21
	v_lshl_or_b32 v21, v6, 3, v20
	v_cmp_neq_f32_e64 s[6:7], s30, 0
	v_addc_co_u32_e32 v31, vcc, 0, v1, vcc
	s_mov_b64 s[14:15], 0
	s_branch .LBB2_8
.LBB2_7:                                ;   in Loop: Header=BB2_8 Depth=1
	s_or_b64 exec, exec, s[2:3]
	v_add_co_u32_e32 v4, vcc, v4, v7
	v_addc_co_u32_e32 v5, vcc, 0, v5, vcc
	v_cmp_le_i64_e32 vcc, s[16:17], v[4:5]
	s_or_b64 s[14:15], vcc, s[14:15]
	s_andn2_b64 exec, exec, s[14:15]
	s_cbranch_execz .LBB2_28
.LBB2_8:                                ; =>This Loop Header: Depth=1
                                        ;     Child Loop BB2_11 Depth 2
	v_lshlrev_b64 v[0:1], 3, v[4:5]
	v_mov_b32_e32 v2, s9
	v_add_co_u32_e32 v0, vcc, s8, v0
	v_addc_co_u32_e32 v1, vcc, v2, v1, vcc
	global_load_dwordx4 v[0:3], v[0:1], off
	v_mov_b32_e32 v32, 0
	s_waitcnt vmcnt(0)
	v_cmp_lt_i64_e32 vcc, v[0:1], v[2:3]
	s_and_saveexec_b64 s[18:19], vcc
	s_cbranch_execz .LBB2_16
; %bb.9:                                ;   in Loop: Header=BB2_8 Depth=1
	v_mov_b32_e32 v13, s22
	v_subrev_co_u32_e32 v2, vcc, s23, v2
	v_subb_co_u32_e32 v3, vcc, v3, v13, vcc
	v_subrev_co_u32_e32 v12, vcc, s23, v0
	v_subb_co_u32_e32 v13, vcc, v1, v13, vcc
	v_add_co_u32_e32 v16, vcc, v26, v0
	v_addc_co_u32_e32 v17, vcc, v27, v1, vcc
	v_lshlrev_b64 v[0:1], 3, v[16:17]
	v_mov_b32_e32 v14, s11
	v_add_co_u32_e32 v0, vcc, s10, v0
	v_addc_co_u32_e32 v1, vcc, v14, v1, vcc
	v_lshlrev_b64 v[14:15], 4, v[16:17]
	v_add_co_u32_e32 v14, vcc, v28, v14
	v_addc_co_u32_e32 v15, vcc, v29, v15, vcc
	v_lshlrev_b64 v[16:17], 2, v[16:17]
	;; [unrolled: 3-line block ×3, first 2 shown]
	v_mov_b32_e32 v18, s13
	v_add_co_u32_e32 v16, vcc, s12, v16
	v_addc_co_u32_e32 v17, vcc, v18, v17, vcc
	s_mov_b64 s[20:21], 0
	v_mov_b32_e32 v32, 0
	s_branch .LBB2_11
.LBB2_10:                               ;   in Loop: Header=BB2_11 Depth=2
	s_or_b64 exec, exec, s[2:3]
	v_add_co_u32_e32 v12, vcc, 8, v12
	v_addc_co_u32_e32 v13, vcc, 0, v13, vcc
	v_add_co_u32_e32 v0, vcc, 64, v0
	v_addc_co_u32_e32 v1, vcc, 0, v1, vcc
	;; [unrolled: 2-line block ×3, first 2 shown]
	v_add_co_u32_e32 v16, vcc, 0x80, v16
	v_cmp_ge_i64_e64 s[2:3], v[12:13], v[2:3]
	s_or_b64 s[20:21], s[2:3], s[20:21]
	v_addc_co_u32_e32 v17, vcc, 0, v17, vcc
	s_andn2_b64 exec, exec, s[20:21]
	s_cbranch_execz .LBB2_15
.LBB2_11:                               ;   Parent Loop BB2_8 Depth=1
                                        ; =>  This Inner Loop Header: Depth=2
	v_add_co_u32_e32 v18, vcc, v6, v12
	v_addc_co_u32_e32 v19, vcc, 0, v13, vcc
	v_cmp_lt_i64_e32 vcc, v[18:19], v[2:3]
	v_pk_mov_b32 v[18:19], 0, 0
	v_mov_b32_e32 v33, 0
	v_mov_b32_e32 v34, 0
	s_and_saveexec_b64 s[2:3], vcc
	s_cbranch_execz .LBB2_13
; %bb.12:                               ;   in Loop: Header=BB2_11 Depth=2
	global_load_dwordx2 v[18:19], v[0:1], off
	global_load_dword v33, v[14:15], off
	global_load_dword v34, v[16:17], off
	v_mov_b32_e32 v35, s22
	s_waitcnt vmcnt(2)
	v_subrev_co_u32_e32 v18, vcc, s23, v18
	v_subb_co_u32_e32 v19, vcc, v19, v35, vcc
	v_lshlrev_b64 v[18:19], 1, v[18:19]
.LBB2_13:                               ;   in Loop: Header=BB2_11 Depth=2
	s_or_b64 exec, exec, s[2:3]
	ds_write_b64 v21, v[18:19]
	s_waitcnt vmcnt(0)
	ds_write2_b32 v22, v33, v34 offset1:1
	s_waitcnt lgkmcnt(0)
	; wave barrier
	s_waitcnt lgkmcnt(0)
	s_and_saveexec_b64 s[2:3], s[0:1]
	s_cbranch_execz .LBB2_10
; %bb.14:                               ;   in Loop: Header=BB2_11 Depth=2
	ds_read_b128 v[34:37], v20
	ds_read_b128 v[38:41], v20 offset:16
	ds_read_b128 v[42:45], v20 offset:32
	ds_read_b128 v[46:49], v20 offset:48
	s_waitcnt lgkmcnt(3)
	v_lshlrev_b64 v[18:19], 2, v[34:35]
	v_add_co_u32_e32 v18, vcc, v24, v18
	v_addc_co_u32_e32 v19, vcc, v25, v19, vcc
	v_lshlrev_b64 v[34:35], 2, v[36:37]
	v_add_co_u32_e32 v34, vcc, v24, v34
	v_addc_co_u32_e32 v35, vcc, v25, v35, vcc
	s_waitcnt lgkmcnt(2)
	v_lshlrev_b64 v[36:37], 2, v[38:39]
	v_add_co_u32_e32 v36, vcc, v24, v36
	v_addc_co_u32_e32 v37, vcc, v25, v37, vcc
	v_lshlrev_b64 v[38:39], 2, v[40:41]
	v_add_co_u32_e32 v38, vcc, v24, v38
	v_addc_co_u32_e32 v39, vcc, v25, v39, vcc
	global_load_dwordx2 v[50:51], v[18:19], off
	global_load_dwordx2 v[52:53], v[34:35], off
	;; [unrolled: 1-line block ×4, first 2 shown]
	s_waitcnt lgkmcnt(1)
	v_lshlrev_b64 v[18:19], 2, v[42:43]
	v_add_co_u32_e32 v18, vcc, v24, v18
	v_addc_co_u32_e32 v19, vcc, v25, v19, vcc
	v_lshlrev_b64 v[34:35], 2, v[44:45]
	v_add_co_u32_e32 v34, vcc, v24, v34
	v_addc_co_u32_e32 v35, vcc, v25, v35, vcc
	s_waitcnt lgkmcnt(0)
	v_lshlrev_b64 v[36:37], 2, v[46:47]
	v_add_co_u32_e32 v36, vcc, v24, v36
	v_addc_co_u32_e32 v37, vcc, v25, v37, vcc
	global_load_dwordx2 v[42:43], v[18:19], off
	global_load_dwordx2 v[44:45], v[34:35], off
	;; [unrolled: 1-line block ×3, first 2 shown]
	v_lshlrev_b64 v[18:19], 2, v[48:49]
	v_add_co_u32_e32 v18, vcc, v24, v18
	v_addc_co_u32_e32 v19, vcc, v25, v19, vcc
	global_load_dwordx2 v[18:19], v[18:19], off
	ds_read2_b64 v[34:37], v23 offset1:3
	ds_read2_b64 v[38:41], v23 offset0:6 offset1:9
	ds_read2_b32 v[48:49], v23 offset0:3 offset1:4
	s_waitcnt vmcnt(7) lgkmcnt(2)
	v_fmac_f32_e32 v32, v34, v50
	v_fmac_f32_e32 v32, v35, v51
	s_waitcnt vmcnt(6) lgkmcnt(0)
	v_fmac_f32_e32 v32, v48, v52
	ds_read2_b32 v[34:35], v23 offset0:9 offset1:10
	ds_read2_b32 v[50:51], v23 offset0:15 offset1:16
	;; [unrolled: 1-line block ×3, first 2 shown]
	v_fmac_f32_e32 v32, v49, v53
	s_waitcnt vmcnt(5)
	v_fmac_f32_e32 v32, v36, v54
	v_fmac_f32_e32 v32, v37, v55
	s_waitcnt vmcnt(4) lgkmcnt(2)
	v_fmac_f32_e32 v32, v34, v56
	v_fmac_f32_e32 v32, v35, v57
	s_waitcnt vmcnt(3)
	v_fmac_f32_e32 v32, v38, v42
	v_fmac_f32_e32 v32, v39, v43
	s_waitcnt vmcnt(2) lgkmcnt(1)
	v_fmac_f32_e32 v32, v50, v44
	;; [unrolled: 6-line block ×3, first 2 shown]
	v_fmac_f32_e32 v32, v59, v19
	s_branch .LBB2_10
.LBB2_15:                               ;   in Loop: Header=BB2_8 Depth=1
	s_or_b64 exec, exec, s[20:21]
.LBB2_16:                               ;   in Loop: Header=BB2_8 Depth=1
	s_or_b64 exec, exec, s[18:19]
	s_and_saveexec_b64 s[2:3], s[0:1]
	s_cbranch_execz .LBB2_7
; %bb.17:                               ;   in Loop: Header=BB2_8 Depth=1
	v_mul_f32_e32 v0, s28, v32
	s_mov_b64 s[18:19], -1
	s_and_b64 vcc, exec, s[6:7]
	s_cbranch_vccz .LBB2_23
; %bb.18:                               ;   in Loop: Header=BB2_8 Depth=1
	s_and_b64 vcc, exec, s[4:5]
	s_cbranch_vccz .LBB2_20
; %bb.19:                               ;   in Loop: Header=BB2_8 Depth=1
	global_load_dword v1, v[8:9], off
	s_mov_b64 s[18:19], 0
	s_waitcnt vmcnt(0)
	v_fma_f32 v1, s30, v1, v0
	global_store_dword v[8:9], v1, off
.LBB2_20:                               ;   in Loop: Header=BB2_8 Depth=1
	s_andn2_b64 vcc, exec, s[18:19]
	s_cbranch_vccnz .LBB2_22
; %bb.21:                               ;   in Loop: Header=BB2_8 Depth=1
	global_load_dword v1, v[10:11], off
	s_waitcnt vmcnt(0)
	v_fma_f32 v1, s30, v1, v0
	global_store_dword v[10:11], v1, off
.LBB2_22:                               ;   in Loop: Header=BB2_8 Depth=1
	s_mov_b64 s[18:19], 0
.LBB2_23:                               ;   in Loop: Header=BB2_8 Depth=1
	s_andn2_b64 vcc, exec, s[18:19]
	s_cbranch_vccnz .LBB2_7
; %bb.24:                               ;   in Loop: Header=BB2_8 Depth=1
	s_mov_b64 s[18:19], -1
	s_and_b64 vcc, exec, s[4:5]
	s_cbranch_vccz .LBB2_26
; %bb.25:                               ;   in Loop: Header=BB2_8 Depth=1
	global_store_dword v[8:9], v0, off
	s_mov_b64 s[18:19], 0
.LBB2_26:                               ;   in Loop: Header=BB2_8 Depth=1
	s_andn2_b64 vcc, exec, s[18:19]
	s_cbranch_vccnz .LBB2_7
; %bb.27:                               ;   in Loop: Header=BB2_8 Depth=1
	global_store_dword v[10:11], v0, off
	s_branch .LBB2_7
.LBB2_28:
	s_endpgm
	.section	.rodata,"a",@progbits
	.p2align	6, 0x0
	.amdhsa_kernel _ZN9rocsparseL29bsrmmnn_small_blockdim_kernelILj64ELj8ELj2EllffffEEv20rocsparse_direction_T3_S2_llNS_24const_host_device_scalarIT7_EEPKT2_PKS2_PKT4_PKT5_llS5_PT6_ll16rocsparse_order_21rocsparse_index_base_b
		.amdhsa_group_segment_fixed_size 1280
		.amdhsa_private_segment_fixed_size 0
		.amdhsa_kernarg_size 400
		.amdhsa_user_sgpr_count 6
		.amdhsa_user_sgpr_private_segment_buffer 1
		.amdhsa_user_sgpr_dispatch_ptr 0
		.amdhsa_user_sgpr_queue_ptr 0
		.amdhsa_user_sgpr_kernarg_segment_ptr 1
		.amdhsa_user_sgpr_dispatch_id 0
		.amdhsa_user_sgpr_flat_scratch_init 0
		.amdhsa_user_sgpr_kernarg_preload_length 0
		.amdhsa_user_sgpr_kernarg_preload_offset 0
		.amdhsa_user_sgpr_private_segment_size 0
		.amdhsa_uses_dynamic_stack 0
		.amdhsa_system_sgpr_private_segment_wavefront_offset 0
		.amdhsa_system_sgpr_workgroup_id_x 1
		.amdhsa_system_sgpr_workgroup_id_y 1
		.amdhsa_system_sgpr_workgroup_id_z 0
		.amdhsa_system_sgpr_workgroup_info 0
		.amdhsa_system_vgpr_workitem_id 0
		.amdhsa_next_free_vgpr 60
		.amdhsa_next_free_sgpr 32
		.amdhsa_accum_offset 60
		.amdhsa_reserve_vcc 1
		.amdhsa_reserve_flat_scratch 0
		.amdhsa_float_round_mode_32 0
		.amdhsa_float_round_mode_16_64 0
		.amdhsa_float_denorm_mode_32 3
		.amdhsa_float_denorm_mode_16_64 3
		.amdhsa_dx10_clamp 1
		.amdhsa_ieee_mode 1
		.amdhsa_fp16_overflow 0
		.amdhsa_tg_split 0
		.amdhsa_exception_fp_ieee_invalid_op 0
		.amdhsa_exception_fp_denorm_src 0
		.amdhsa_exception_fp_ieee_div_zero 0
		.amdhsa_exception_fp_ieee_overflow 0
		.amdhsa_exception_fp_ieee_underflow 0
		.amdhsa_exception_fp_ieee_inexact 0
		.amdhsa_exception_int_div_zero 0
	.end_amdhsa_kernel
	.section	.text._ZN9rocsparseL29bsrmmnn_small_blockdim_kernelILj64ELj8ELj2EllffffEEv20rocsparse_direction_T3_S2_llNS_24const_host_device_scalarIT7_EEPKT2_PKS2_PKT4_PKT5_llS5_PT6_ll16rocsparse_order_21rocsparse_index_base_b,"axG",@progbits,_ZN9rocsparseL29bsrmmnn_small_blockdim_kernelILj64ELj8ELj2EllffffEEv20rocsparse_direction_T3_S2_llNS_24const_host_device_scalarIT7_EEPKT2_PKS2_PKT4_PKT5_llS5_PT6_ll16rocsparse_order_21rocsparse_index_base_b,comdat
.Lfunc_end2:
	.size	_ZN9rocsparseL29bsrmmnn_small_blockdim_kernelILj64ELj8ELj2EllffffEEv20rocsparse_direction_T3_S2_llNS_24const_host_device_scalarIT7_EEPKT2_PKS2_PKT4_PKT5_llS5_PT6_ll16rocsparse_order_21rocsparse_index_base_b, .Lfunc_end2-_ZN9rocsparseL29bsrmmnn_small_blockdim_kernelILj64ELj8ELj2EllffffEEv20rocsparse_direction_T3_S2_llNS_24const_host_device_scalarIT7_EEPKT2_PKS2_PKT4_PKT5_llS5_PT6_ll16rocsparse_order_21rocsparse_index_base_b
                                        ; -- End function
	.section	.AMDGPU.csdata,"",@progbits
; Kernel info:
; codeLenInByte = 1536
; NumSgprs: 36
; NumVgprs: 60
; NumAgprs: 0
; TotalNumVgprs: 60
; ScratchSize: 0
; MemoryBound: 0
; FloatMode: 240
; IeeeMode: 1
; LDSByteSize: 1280 bytes/workgroup (compile time only)
; SGPRBlocks: 4
; VGPRBlocks: 7
; NumSGPRsForWavesPerEU: 36
; NumVGPRsForWavesPerEU: 60
; AccumOffset: 60
; Occupancy: 8
; WaveLimiterHint : 1
; COMPUTE_PGM_RSRC2:SCRATCH_EN: 0
; COMPUTE_PGM_RSRC2:USER_SGPR: 6
; COMPUTE_PGM_RSRC2:TRAP_HANDLER: 0
; COMPUTE_PGM_RSRC2:TGID_X_EN: 1
; COMPUTE_PGM_RSRC2:TGID_Y_EN: 1
; COMPUTE_PGM_RSRC2:TGID_Z_EN: 0
; COMPUTE_PGM_RSRC2:TIDIG_COMP_CNT: 0
; COMPUTE_PGM_RSRC3_GFX90A:ACCUM_OFFSET: 14
; COMPUTE_PGM_RSRC3_GFX90A:TG_SPLIT: 0
	.section	.text._ZN9rocsparseL29bsrmmnn_small_blockdim_kernelILj64ELj8ELj2EiiddddEEv20rocsparse_direction_T3_S2_llNS_24const_host_device_scalarIT7_EEPKT2_PKS2_PKT4_PKT5_llS5_PT6_ll16rocsparse_order_21rocsparse_index_base_b,"axG",@progbits,_ZN9rocsparseL29bsrmmnn_small_blockdim_kernelILj64ELj8ELj2EiiddddEEv20rocsparse_direction_T3_S2_llNS_24const_host_device_scalarIT7_EEPKT2_PKS2_PKT4_PKT5_llS5_PT6_ll16rocsparse_order_21rocsparse_index_base_b,comdat
	.globl	_ZN9rocsparseL29bsrmmnn_small_blockdim_kernelILj64ELj8ELj2EiiddddEEv20rocsparse_direction_T3_S2_llNS_24const_host_device_scalarIT7_EEPKT2_PKS2_PKT4_PKT5_llS5_PT6_ll16rocsparse_order_21rocsparse_index_base_b ; -- Begin function _ZN9rocsparseL29bsrmmnn_small_blockdim_kernelILj64ELj8ELj2EiiddddEEv20rocsparse_direction_T3_S2_llNS_24const_host_device_scalarIT7_EEPKT2_PKS2_PKT4_PKT5_llS5_PT6_ll16rocsparse_order_21rocsparse_index_base_b
	.p2align	8
	.type	_ZN9rocsparseL29bsrmmnn_small_blockdim_kernelILj64ELj8ELj2EiiddddEEv20rocsparse_direction_T3_S2_llNS_24const_host_device_scalarIT7_EEPKT2_PKS2_PKT4_PKT5_llS5_PT6_ll16rocsparse_order_21rocsparse_index_base_b,@function
_ZN9rocsparseL29bsrmmnn_small_blockdim_kernelILj64ELj8ELj2EiiddddEEv20rocsparse_direction_T3_S2_llNS_24const_host_device_scalarIT7_EEPKT2_PKS2_PKT4_PKT5_llS5_PT6_ll16rocsparse_order_21rocsparse_index_base_b: ; @_ZN9rocsparseL29bsrmmnn_small_blockdim_kernelILj64ELj8ELj2EiiddddEEv20rocsparse_direction_T3_S2_llNS_24const_host_device_scalarIT7_EEPKT2_PKS2_PKT4_PKT5_llS5_PT6_ll16rocsparse_order_21rocsparse_index_base_b
; %bb.0:
	s_load_dwordx4 s[16:19], s[4:5], 0x78
	s_load_dwordx2 s[8:9], s[4:5], 0x20
	s_load_dwordx2 s[0:1], s[4:5], 0x58
	s_waitcnt lgkmcnt(0)
	s_bitcmp1_b32 s18, 0
	s_cselect_b64 s[10:11], -1, 0
	s_xor_b64 s[2:3], s[10:11], -1
	s_and_b64 vcc, exec, s[10:11]
	v_pk_mov_b32 v[2:3], s[8:9], s[8:9] op_sel:[0,1]
	s_cbranch_vccnz .LBB3_2
; %bb.1:
	v_pk_mov_b32 v[2:3], s[8:9], s[8:9] op_sel:[0,1]
	flat_load_dwordx2 v[2:3], v[2:3]
.LBB3_2:
	s_andn2_b64 vcc, exec, s[2:3]
	v_pk_mov_b32 v[4:5], s[0:1], s[0:1] op_sel:[0,1]
	s_cbranch_vccnz .LBB3_4
; %bb.3:
	v_pk_mov_b32 v[4:5], s[0:1], s[0:1] op_sel:[0,1]
	flat_load_dwordx2 v[4:5], v[4:5]
.LBB3_4:
	s_waitcnt vmcnt(0) lgkmcnt(0)
	v_cmp_neq_f64_e32 vcc, 0, v[2:3]
	v_cmp_neq_f64_e64 s[0:1], 1.0, v[4:5]
	s_or_b64 s[0:1], vcc, s[0:1]
	s_and_saveexec_b64 s[2:3], s[0:1]
	s_cbranch_execz .LBB3_27
; %bb.5:
	s_load_dword s0, s[4:5], 0x88
	s_load_dwordx4 s[20:23], s[4:5], 0x0
	s_add_u32 s1, s4, 0x88
	s_addc_u32 s3, s5, 0
	v_mov_b32_e32 v1, 0
	s_waitcnt lgkmcnt(0)
	s_cmp_lt_u32 s6, s0
	s_cselect_b32 s2, 12, 18
	s_add_u32 s2, s1, s2
	s_addc_u32 s3, s3, 0
	global_load_ushort v8, v1, s[2:3]
	s_waitcnt vmcnt(0)
	v_mul_lo_u32 v6, s6, v8
	v_add_u32_e32 v7, v6, v0
	v_lshrrev_b32_e32 v6, 4, v7
	v_cmp_gt_i32_e32 vcc, s21, v6
	s_and_b64 exec, exec, vcc
	s_cbranch_execz .LBB3_27
; %bb.6:
	v_and_b32_e32 v22, 7, v7
	v_mul_lo_u32 v8, s0, v8
	s_load_dwordx4 s[24:27], s[4:5], 0x60
	s_load_dwordx2 s[0:1], s[4:5], 0x48
	v_lshl_or_b32 v10, s7, 3, v22
	v_ashrrev_i32_e32 v11, 31, v10
	v_lshrrev_b32_e32 v23, 4, v8
	v_lshlrev_b64 v[8:9], 3, v[10:11]
	s_load_dwordx8 s[8:15], s[4:5], 0x28
	s_waitcnt lgkmcnt(0)
	v_mov_b32_e32 v15, s25
	v_add_co_u32_e32 v16, vcc, s24, v8
	v_addc_co_u32_e32 v17, vcc, v15, v9, vcc
	v_mul_lo_u32 v13, v11, s0
	v_mul_lo_u32 v18, v10, s1
	v_mad_u64_u32 v[8:9], s[0:1], v10, s0, 0
	v_lshrrev_b32_e32 v0, 3, v0
	v_add3_u32 v9, v9, v18, v13
	v_mov_b32_e32 v13, 0x600
	v_lshl_or_b32 v24, v0, 5, v13
	v_mul_u32_u24_e32 v13, 3, v22
	v_lshlrev_b32_e32 v13, 3, v13
	s_movk_i32 s0, 0xc0
	v_lshlrev_b64 v[8:9], 3, v[8:9]
	v_lshrrev_b32_e32 v12, 3, v7
	v_mad_u32_u24 v26, v0, s0, v13
	v_mul_u32_u24_e32 v27, 0xc0, v0
	v_mov_b32_e32 v0, s15
	v_add_co_u32_e32 v28, vcc, s14, v8
	v_addc_co_u32_e32 v29, vcc, v0, v9, vcc
	v_mad_u64_u32 v[8:9], s[14:15], v12, s26, 0
	v_mov_b32_e32 v0, v9
	v_mad_u64_u32 v[12:13], s[14:15], v12, s27, v[0:1]
	v_mov_b32_e32 v9, v12
	v_cmp_gt_i32_e64 s[0:1], s22, v10
	v_lshlrev_b64 v[8:9], 3, v[8:9]
	v_mul_lo_u32 v0, v11, s26
	v_mul_lo_u32 v12, v10, s27
	v_mad_u64_u32 v[10:11], s[14:15], v10, s26, 0
	v_add_co_u32_e32 v8, vcc, v16, v8
	v_add3_u32 v11, v11, v12, v0
	s_cmp_lg_u32 s16, 1
	v_addc_co_u32_e32 v9, vcc, v17, v9, vcc
	v_lshlrev_b64 v[10:11], 3, v[10:11]
	s_cselect_b64 s[4:5], -1, 0
	s_cmp_eq_u32 s20, 0
	v_add_co_u32_e32 v0, vcc, s24, v10
	v_bfe_u32 v14, v7, 3, 1
	v_addc_co_u32_e32 v11, vcc, v15, v11, vcc
	v_and_b32_e32 v7, -8, v7
	s_cselect_b64 s[14:15], -1, 0
	v_add_co_u32_e32 v10, vcc, v0, v7
	v_cndmask_b32_e64 v0, 0, 1, s[14:15]
	s_and_b64 s[14:15], s[14:15], exec
	v_lshl_or_b32 v25, v22, 2, v24
	s_mov_b64 s[6:7], 0
	v_cmp_neq_f64_e64 s[2:3], 0, v[4:5]
	v_addc_co_u32_e32 v11, vcc, 0, v11, vcc
	s_cselect_b32 s16, 1, 2
	v_lshlrev_b32_e32 v30, v0, v14
	v_subrev_u32_e32 v31, s17, v22
	v_mov_b32_e32 v32, s9
	s_branch .LBB3_8
.LBB3_7:                                ;   in Loop: Header=BB3_8 Depth=1
	s_or_b64 exec, exec, s[14:15]
	v_add_u32_e32 v6, v6, v23
	v_cmp_le_i32_e32 vcc, s21, v6
	s_or_b64 s[6:7], vcc, s[6:7]
	s_andn2_b64 exec, exec, s[6:7]
	s_cbranch_execz .LBB3_27
.LBB3_8:                                ; =>This Loop Header: Depth=1
                                        ;     Child Loop BB3_11 Depth 2
	v_mov_b32_e32 v7, v1
	v_lshlrev_b64 v[12:13], 2, v[6:7]
	v_add_co_u32_e32 v12, vcc, s8, v12
	v_addc_co_u32_e32 v13, vcc, v32, v13, vcc
	global_load_dwordx2 v[14:15], v[12:13], off
	v_pk_mov_b32 v[12:13], 0, 0
	s_waitcnt vmcnt(0)
	v_cmp_lt_i32_e32 vcc, v14, v15
	s_and_saveexec_b64 s[14:15], vcc
	s_cbranch_execz .LBB3_16
; %bb.9:                                ;   in Loop: Header=BB3_8 Depth=1
	v_subrev_u32_e32 v7, s17, v15
	v_subrev_u32_e32 v33, s17, v14
	v_add_u32_e32 v0, v31, v14
	v_pk_mov_b32 v[14:15], 0, 0
	v_lshl_or_b32 v0, v0, 2, v30
	s_mov_b64 s[18:19], 0
	v_pk_mov_b32 v[12:13], v[14:15], v[14:15] op_sel:[0,1]
	s_branch .LBB3_11
.LBB3_10:                               ;   in Loop: Header=BB3_11 Depth=2
	s_or_b64 exec, exec, s[22:23]
	v_add_u32_e32 v33, 8, v33
	v_cmp_ge_i32_e32 vcc, v33, v7
	s_or_b64 s[18:19], vcc, s[18:19]
	v_add_u32_e32 v0, 32, v0
	s_andn2_b64 exec, exec, s[18:19]
	s_cbranch_execz .LBB3_15
.LBB3_11:                               ;   Parent Loop BB3_8 Depth=1
                                        ; =>  This Inner Loop Header: Depth=2
	v_add_u32_e32 v20, v22, v33
	v_cmp_lt_i32_e32 vcc, v20, v7
	v_mov_b32_e32 v21, 0
	v_pk_mov_b32 v[16:17], v[14:15], v[14:15] op_sel:[0,1]
	v_pk_mov_b32 v[18:19], v[14:15], v[14:15] op_sel:[0,1]
	s_and_saveexec_b64 s[22:23], vcc
	s_cbranch_execz .LBB3_13
; %bb.12:                               ;   in Loop: Header=BB3_11 Depth=2
	v_ashrrev_i32_e32 v21, 31, v20
	v_lshlrev_b64 v[16:17], 2, v[20:21]
	v_mov_b32_e32 v18, s11
	v_add_co_u32_e32 v16, vcc, s10, v16
	v_addc_co_u32_e32 v17, vcc, v18, v17, vcc
	global_load_dword v36, v[16:17], off
	v_lshlrev_b64 v[16:17], 3, v[0:1]
	v_mov_b32_e32 v18, s13
	v_add_co_u32_e32 v20, vcc, s12, v16
	v_addc_co_u32_e32 v21, vcc, v18, v17, vcc
	v_add_u32_e32 v16, s16, v0
	v_mov_b32_e32 v17, v1
	v_lshlrev_b64 v[16:17], 3, v[16:17]
	v_add_co_u32_e32 v34, vcc, s12, v16
	v_addc_co_u32_e32 v35, vcc, v18, v17, vcc
	global_load_dwordx2 v[16:17], v[20:21], off
	global_load_dwordx2 v[18:19], v[34:35], off
	s_waitcnt vmcnt(2)
	v_subrev_u32_e32 v20, s17, v36
	v_lshlrev_b32_e32 v21, 1, v20
.LBB3_13:                               ;   in Loop: Header=BB3_11 Depth=2
	s_or_b64 exec, exec, s[22:23]
	ds_write_b32 v25, v21
	s_waitcnt vmcnt(0)
	ds_write2_b64 v26, v[16:17], v[18:19] offset1:1
	s_waitcnt lgkmcnt(0)
	; wave barrier
	s_waitcnt lgkmcnt(0)
	s_and_saveexec_b64 s[22:23], s[0:1]
	s_cbranch_execz .LBB3_10
; %bb.14:                               ;   in Loop: Header=BB3_11 Depth=2
	ds_read_b128 v[16:19], v24
	ds_read_b128 v[34:37], v24 offset:16
	s_waitcnt lgkmcnt(1)
	v_ashrrev_i32_e32 v21, 31, v16
	v_mov_b32_e32 v20, v16
	v_lshlrev_b64 v[20:21], 3, v[20:21]
	v_add_co_u32_e32 v20, vcc, v28, v20
	v_ashrrev_i32_e32 v39, 31, v17
	v_mov_b32_e32 v38, v17
	v_addc_co_u32_e32 v21, vcc, v29, v21, vcc
	v_lshlrev_b64 v[16:17], 3, v[38:39]
	v_add_co_u32_e32 v16, vcc, v28, v16
	v_addc_co_u32_e32 v17, vcc, v29, v17, vcc
	global_load_dwordx4 v[38:41], v[20:21], off
	global_load_dwordx4 v[42:45], v[16:17], off
	v_ashrrev_i32_e32 v17, 31, v18
	v_mov_b32_e32 v16, v18
	v_lshlrev_b64 v[16:17], 3, v[16:17]
	v_add_co_u32_e32 v20, vcc, v28, v16
	v_addc_co_u32_e32 v21, vcc, v29, v17, vcc
	v_ashrrev_i32_e32 v17, 31, v19
	v_mov_b32_e32 v16, v19
	v_lshlrev_b64 v[16:17], 3, v[16:17]
	v_add_co_u32_e32 v50, vcc, v28, v16
	v_addc_co_u32_e32 v51, vcc, v29, v17, vcc
	global_load_dwordx4 v[16:19], v[20:21], off
	global_load_dwordx4 v[46:49], v[50:51], off
	s_waitcnt lgkmcnt(0)
	v_ashrrev_i32_e32 v21, 31, v34
	v_mov_b32_e32 v20, v34
	v_lshlrev_b64 v[20:21], 3, v[20:21]
	v_add_co_u32_e32 v20, vcc, v28, v20
	v_ashrrev_i32_e32 v51, 31, v35
	v_mov_b32_e32 v50, v35
	v_addc_co_u32_e32 v21, vcc, v29, v21, vcc
	v_lshlrev_b64 v[34:35], 3, v[50:51]
	v_add_co_u32_e32 v34, vcc, v28, v34
	v_addc_co_u32_e32 v35, vcc, v29, v35, vcc
	global_load_dwordx4 v[50:53], v[20:21], off
	global_load_dwordx4 v[54:57], v[34:35], off
	v_ashrrev_i32_e32 v21, 31, v36
	v_mov_b32_e32 v20, v36
	v_lshlrev_b64 v[20:21], 3, v[20:21]
	v_add_co_u32_e32 v20, vcc, v28, v20
	v_addc_co_u32_e32 v21, vcc, v29, v21, vcc
	global_load_dwordx4 v[58:61], v[20:21], off
	v_ashrrev_i32_e32 v21, 31, v37
	v_mov_b32_e32 v20, v37
	v_lshlrev_b64 v[20:21], 3, v[20:21]
	v_add_co_u32_e32 v20, vcc, v28, v20
	v_addc_co_u32_e32 v21, vcc, v29, v21, vcc
	global_load_dwordx4 v[34:37], v[20:21], off
	ds_read_b128 v[62:65], v27
	ds_read2_b64 v[66:69], v27 offset0:3 offset1:4
	ds_read_b128 v[70:73], v27 offset:48
	ds_read2_b64 v[74:77], v27 offset0:9 offset1:10
	ds_read_b128 v[78:81], v27 offset:96
	ds_read2_b64 v[82:85], v27 offset0:15 offset1:16
	s_waitcnt vmcnt(7) lgkmcnt(5)
	v_fmac_f64_e32 v[12:13], v[62:63], v[38:39]
	v_fmac_f64_e32 v[12:13], v[64:65], v[40:41]
	s_waitcnt vmcnt(6) lgkmcnt(4)
	v_fmac_f64_e32 v[12:13], v[66:67], v[42:43]
	v_fmac_f64_e32 v[12:13], v[68:69], v[44:45]
	ds_read2_b64 v[38:41], v27 offset0:21 offset1:22
	s_waitcnt vmcnt(5) lgkmcnt(4)
	v_fmac_f64_e32 v[12:13], v[70:71], v[16:17]
	v_fmac_f64_e32 v[12:13], v[72:73], v[18:19]
	s_waitcnt vmcnt(4) lgkmcnt(3)
	v_fmac_f64_e32 v[12:13], v[74:75], v[46:47]
	v_fmac_f64_e32 v[12:13], v[76:77], v[48:49]
	ds_read_b128 v[16:19], v27 offset:144
	s_waitcnt vmcnt(3) lgkmcnt(3)
	v_fmac_f64_e32 v[12:13], v[78:79], v[50:51]
	v_fmac_f64_e32 v[12:13], v[80:81], v[52:53]
	s_waitcnt vmcnt(2) lgkmcnt(2)
	v_fmac_f64_e32 v[12:13], v[82:83], v[54:55]
	v_fmac_f64_e32 v[12:13], v[84:85], v[56:57]
	;; [unrolled: 3-line block ×3, first 2 shown]
	s_waitcnt vmcnt(0)
	v_fmac_f64_e32 v[12:13], v[38:39], v[34:35]
	v_fmac_f64_e32 v[12:13], v[40:41], v[36:37]
	s_branch .LBB3_10
.LBB3_15:                               ;   in Loop: Header=BB3_8 Depth=1
	s_or_b64 exec, exec, s[18:19]
.LBB3_16:                               ;   in Loop: Header=BB3_8 Depth=1
	s_or_b64 exec, exec, s[14:15]
	s_and_saveexec_b64 s[14:15], s[0:1]
	s_cbranch_execz .LBB3_7
; %bb.17:                               ;   in Loop: Header=BB3_8 Depth=1
	v_mul_f64 v[12:13], v[2:3], v[12:13]
	s_and_saveexec_b64 s[18:19], s[2:3]
	s_xor_b64 s[18:19], exec, s[18:19]
	s_cbranch_execz .LBB3_22
; %bb.18:                               ;   in Loop: Header=BB3_8 Depth=1
	s_mov_b64 s[22:23], -1
	s_and_b64 vcc, exec, s[4:5]
	s_cbranch_vccz .LBB3_20
; %bb.19:                               ;   in Loop: Header=BB3_8 Depth=1
	global_load_dwordx2 v[14:15], v[8:9], off
	s_mov_b64 s[22:23], 0
	s_waitcnt vmcnt(0)
	v_fma_f64 v[14:15], v[4:5], v[14:15], v[12:13]
	global_store_dwordx2 v[8:9], v[14:15], off
.LBB3_20:                               ;   in Loop: Header=BB3_8 Depth=1
	s_andn2_b64 vcc, exec, s[22:23]
	s_cbranch_vccnz .LBB3_22
; %bb.21:                               ;   in Loop: Header=BB3_8 Depth=1
	global_load_dwordx2 v[14:15], v[10:11], off
	s_waitcnt vmcnt(0)
	v_fmac_f64_e32 v[12:13], v[4:5], v[14:15]
	global_store_dwordx2 v[10:11], v[12:13], off
                                        ; implicit-def: $vgpr12_vgpr13
.LBB3_22:                               ;   in Loop: Header=BB3_8 Depth=1
	s_andn2_saveexec_b64 s[18:19], s[18:19]
	s_cbranch_execz .LBB3_7
; %bb.23:                               ;   in Loop: Header=BB3_8 Depth=1
	s_mov_b64 s[18:19], -1
	s_and_b64 vcc, exec, s[4:5]
	s_cbranch_vccz .LBB3_25
; %bb.24:                               ;   in Loop: Header=BB3_8 Depth=1
	global_store_dwordx2 v[8:9], v[12:13], off
	s_mov_b64 s[18:19], 0
.LBB3_25:                               ;   in Loop: Header=BB3_8 Depth=1
	s_andn2_b64 vcc, exec, s[18:19]
	s_cbranch_vccnz .LBB3_7
; %bb.26:                               ;   in Loop: Header=BB3_8 Depth=1
	global_store_dwordx2 v[10:11], v[12:13], off
	s_branch .LBB3_7
.LBB3_27:
	s_endpgm
	.section	.rodata,"a",@progbits
	.p2align	6, 0x0
	.amdhsa_kernel _ZN9rocsparseL29bsrmmnn_small_blockdim_kernelILj64ELj8ELj2EiiddddEEv20rocsparse_direction_T3_S2_llNS_24const_host_device_scalarIT7_EEPKT2_PKS2_PKT4_PKT5_llS5_PT6_ll16rocsparse_order_21rocsparse_index_base_b
		.amdhsa_group_segment_fixed_size 1792
		.amdhsa_private_segment_fixed_size 0
		.amdhsa_kernarg_size 392
		.amdhsa_user_sgpr_count 6
		.amdhsa_user_sgpr_private_segment_buffer 1
		.amdhsa_user_sgpr_dispatch_ptr 0
		.amdhsa_user_sgpr_queue_ptr 0
		.amdhsa_user_sgpr_kernarg_segment_ptr 1
		.amdhsa_user_sgpr_dispatch_id 0
		.amdhsa_user_sgpr_flat_scratch_init 0
		.amdhsa_user_sgpr_kernarg_preload_length 0
		.amdhsa_user_sgpr_kernarg_preload_offset 0
		.amdhsa_user_sgpr_private_segment_size 0
		.amdhsa_uses_dynamic_stack 0
		.amdhsa_system_sgpr_private_segment_wavefront_offset 0
		.amdhsa_system_sgpr_workgroup_id_x 1
		.amdhsa_system_sgpr_workgroup_id_y 1
		.amdhsa_system_sgpr_workgroup_id_z 0
		.amdhsa_system_sgpr_workgroup_info 0
		.amdhsa_system_vgpr_workitem_id 0
		.amdhsa_next_free_vgpr 86
		.amdhsa_next_free_sgpr 28
		.amdhsa_accum_offset 88
		.amdhsa_reserve_vcc 1
		.amdhsa_reserve_flat_scratch 0
		.amdhsa_float_round_mode_32 0
		.amdhsa_float_round_mode_16_64 0
		.amdhsa_float_denorm_mode_32 3
		.amdhsa_float_denorm_mode_16_64 3
		.amdhsa_dx10_clamp 1
		.amdhsa_ieee_mode 1
		.amdhsa_fp16_overflow 0
		.amdhsa_tg_split 0
		.amdhsa_exception_fp_ieee_invalid_op 0
		.amdhsa_exception_fp_denorm_src 0
		.amdhsa_exception_fp_ieee_div_zero 0
		.amdhsa_exception_fp_ieee_overflow 0
		.amdhsa_exception_fp_ieee_underflow 0
		.amdhsa_exception_fp_ieee_inexact 0
		.amdhsa_exception_int_div_zero 0
	.end_amdhsa_kernel
	.section	.text._ZN9rocsparseL29bsrmmnn_small_blockdim_kernelILj64ELj8ELj2EiiddddEEv20rocsparse_direction_T3_S2_llNS_24const_host_device_scalarIT7_EEPKT2_PKS2_PKT4_PKT5_llS5_PT6_ll16rocsparse_order_21rocsparse_index_base_b,"axG",@progbits,_ZN9rocsparseL29bsrmmnn_small_blockdim_kernelILj64ELj8ELj2EiiddddEEv20rocsparse_direction_T3_S2_llNS_24const_host_device_scalarIT7_EEPKT2_PKS2_PKT4_PKT5_llS5_PT6_ll16rocsparse_order_21rocsparse_index_base_b,comdat
.Lfunc_end3:
	.size	_ZN9rocsparseL29bsrmmnn_small_blockdim_kernelILj64ELj8ELj2EiiddddEEv20rocsparse_direction_T3_S2_llNS_24const_host_device_scalarIT7_EEPKT2_PKS2_PKT4_PKT5_llS5_PT6_ll16rocsparse_order_21rocsparse_index_base_b, .Lfunc_end3-_ZN9rocsparseL29bsrmmnn_small_blockdim_kernelILj64ELj8ELj2EiiddddEEv20rocsparse_direction_T3_S2_llNS_24const_host_device_scalarIT7_EEPKT2_PKS2_PKT4_PKT5_llS5_PT6_ll16rocsparse_order_21rocsparse_index_base_b
                                        ; -- End function
	.section	.AMDGPU.csdata,"",@progbits
; Kernel info:
; codeLenInByte = 1528
; NumSgprs: 32
; NumVgprs: 86
; NumAgprs: 0
; TotalNumVgprs: 86
; ScratchSize: 0
; MemoryBound: 0
; FloatMode: 240
; IeeeMode: 1
; LDSByteSize: 1792 bytes/workgroup (compile time only)
; SGPRBlocks: 3
; VGPRBlocks: 10
; NumSGPRsForWavesPerEU: 32
; NumVGPRsForWavesPerEU: 86
; AccumOffset: 88
; Occupancy: 5
; WaveLimiterHint : 1
; COMPUTE_PGM_RSRC2:SCRATCH_EN: 0
; COMPUTE_PGM_RSRC2:USER_SGPR: 6
; COMPUTE_PGM_RSRC2:TRAP_HANDLER: 0
; COMPUTE_PGM_RSRC2:TGID_X_EN: 1
; COMPUTE_PGM_RSRC2:TGID_Y_EN: 1
; COMPUTE_PGM_RSRC2:TGID_Z_EN: 0
; COMPUTE_PGM_RSRC2:TIDIG_COMP_CNT: 0
; COMPUTE_PGM_RSRC3_GFX90A:ACCUM_OFFSET: 21
; COMPUTE_PGM_RSRC3_GFX90A:TG_SPLIT: 0
	.section	.text._ZN9rocsparseL29bsrmmnn_small_blockdim_kernelILj64ELj8ELj2EliddddEEv20rocsparse_direction_T3_S2_llNS_24const_host_device_scalarIT7_EEPKT2_PKS2_PKT4_PKT5_llS5_PT6_ll16rocsparse_order_21rocsparse_index_base_b,"axG",@progbits,_ZN9rocsparseL29bsrmmnn_small_blockdim_kernelILj64ELj8ELj2EliddddEEv20rocsparse_direction_T3_S2_llNS_24const_host_device_scalarIT7_EEPKT2_PKS2_PKT4_PKT5_llS5_PT6_ll16rocsparse_order_21rocsparse_index_base_b,comdat
	.globl	_ZN9rocsparseL29bsrmmnn_small_blockdim_kernelILj64ELj8ELj2EliddddEEv20rocsparse_direction_T3_S2_llNS_24const_host_device_scalarIT7_EEPKT2_PKS2_PKT4_PKT5_llS5_PT6_ll16rocsparse_order_21rocsparse_index_base_b ; -- Begin function _ZN9rocsparseL29bsrmmnn_small_blockdim_kernelILj64ELj8ELj2EliddddEEv20rocsparse_direction_T3_S2_llNS_24const_host_device_scalarIT7_EEPKT2_PKS2_PKT4_PKT5_llS5_PT6_ll16rocsparse_order_21rocsparse_index_base_b
	.p2align	8
	.type	_ZN9rocsparseL29bsrmmnn_small_blockdim_kernelILj64ELj8ELj2EliddddEEv20rocsparse_direction_T3_S2_llNS_24const_host_device_scalarIT7_EEPKT2_PKS2_PKT4_PKT5_llS5_PT6_ll16rocsparse_order_21rocsparse_index_base_b,@function
_ZN9rocsparseL29bsrmmnn_small_blockdim_kernelILj64ELj8ELj2EliddddEEv20rocsparse_direction_T3_S2_llNS_24const_host_device_scalarIT7_EEPKT2_PKS2_PKT4_PKT5_llS5_PT6_ll16rocsparse_order_21rocsparse_index_base_b: ; @_ZN9rocsparseL29bsrmmnn_small_blockdim_kernelILj64ELj8ELj2EliddddEEv20rocsparse_direction_T3_S2_llNS_24const_host_device_scalarIT7_EEPKT2_PKS2_PKT4_PKT5_llS5_PT6_ll16rocsparse_order_21rocsparse_index_base_b
; %bb.0:
	s_load_dwordx4 s[16:19], s[4:5], 0x78
	s_load_dwordx2 s[8:9], s[4:5], 0x20
	s_load_dwordx2 s[0:1], s[4:5], 0x58
	s_waitcnt lgkmcnt(0)
	s_bitcmp1_b32 s18, 0
	s_cselect_b64 s[10:11], -1, 0
	s_xor_b64 s[2:3], s[10:11], -1
	s_and_b64 vcc, exec, s[10:11]
	v_pk_mov_b32 v[4:5], s[8:9], s[8:9] op_sel:[0,1]
	s_cbranch_vccnz .LBB4_2
; %bb.1:
	v_pk_mov_b32 v[2:3], s[8:9], s[8:9] op_sel:[0,1]
	flat_load_dwordx2 v[4:5], v[2:3]
.LBB4_2:
	s_andn2_b64 vcc, exec, s[2:3]
	v_pk_mov_b32 v[6:7], s[0:1], s[0:1] op_sel:[0,1]
	s_cbranch_vccnz .LBB4_4
; %bb.3:
	v_pk_mov_b32 v[2:3], s[0:1], s[0:1] op_sel:[0,1]
	flat_load_dwordx2 v[6:7], v[2:3]
.LBB4_4:
	s_waitcnt vmcnt(0) lgkmcnt(0)
	v_cmp_neq_f64_e32 vcc, 0, v[4:5]
	v_cmp_neq_f64_e64 s[0:1], 1.0, v[6:7]
	s_or_b64 s[0:1], vcc, s[0:1]
	s_and_saveexec_b64 s[2:3], s[0:1]
	s_cbranch_execz .LBB4_27
; %bb.5:
	s_load_dword s0, s[4:5], 0x88
	s_load_dwordx4 s[20:23], s[4:5], 0x0
	s_add_u32 s1, s4, 0x88
	s_addc_u32 s3, s5, 0
	v_mov_b32_e32 v9, 0
	s_waitcnt lgkmcnt(0)
	s_cmp_lt_u32 s6, s0
	s_cselect_b32 s2, 12, 18
	s_add_u32 s2, s1, s2
	s_addc_u32 s3, s3, 0
	global_load_ushort v2, v9, s[2:3]
	s_mov_b32 s28, 0
	s_waitcnt vmcnt(0)
	v_mul_lo_u32 v1, s6, v2
	v_add_u32_e32 v1, v1, v0
	v_lshrrev_b32_e32 v8, 4, v1
	v_cmp_gt_i32_e32 vcc, s21, v8
	s_and_b64 exec, exec, vcc
	s_cbranch_execz .LBB4_27
; %bb.6:
	v_mul_lo_u32 v2, s0, v2
	s_load_dwordx4 s[24:27], s[4:5], 0x60
	s_load_dwordx2 s[0:1], s[4:5], 0x48
	v_and_b32_e32 v10, 7, v1
	v_lshrrev_b32_e32 v11, 4, v2
	v_lshl_or_b32 v2, s7, 3, v10
	v_ashrrev_i32_e32 v3, 31, v2
	v_lshlrev_b64 v[12:13], 3, v[2:3]
	s_load_dwordx8 s[8:15], s[4:5], 0x28
	s_waitcnt lgkmcnt(0)
	v_mov_b32_e32 v16, s25
	v_add_co_u32_e32 v17, vcc, s24, v12
	v_addc_co_u32_e32 v18, vcc, v16, v13, vcc
	v_mul_lo_u32 v15, v3, s0
	v_mul_lo_u32 v20, v2, s1
	v_mad_u64_u32 v[12:13], s[0:1], v2, s0, 0
	v_lshrrev_b32_e32 v0, 3, v0
	v_add3_u32 v13, v13, v20, v15
	v_mov_b32_e32 v15, 0x600
	v_lshl_or_b32 v30, v0, 5, v15
	v_mul_u32_u24_e32 v15, 3, v10
	v_lshlrev_b32_e32 v15, 3, v15
	s_movk_i32 s0, 0xc0
	v_lshlrev_b64 v[12:13], 3, v[12:13]
	v_lshrrev_b32_e32 v14, 3, v1
	v_mad_u32_u24 v32, v0, s0, v15
	v_mul_u32_u24_e32 v33, 0xc0, v0
	v_mov_b32_e32 v0, s15
	v_add_co_u32_e32 v34, vcc, s14, v12
	v_addc_co_u32_e32 v35, vcc, v0, v13, vcc
	v_mad_u64_u32 v[12:13], s[4:5], v14, s26, 0
	v_mov_b32_e32 v0, v13
	v_mad_u64_u32 v[14:15], s[4:5], v14, s27, v[0:1]
	v_mov_b32_e32 v13, v14
	v_cmp_gt_i32_e64 s[0:1], s22, v2
	v_lshlrev_b64 v[12:13], 3, v[12:13]
	v_mul_lo_u32 v0, v3, s26
	v_mul_lo_u32 v14, v2, s27
	v_mad_u64_u32 v[2:3], s[4:5], v2, s26, 0
	v_add_co_u32_e32 v12, vcc, v17, v12
	v_add3_u32 v3, v3, v14, v0
	s_cmp_lg_u32 s16, 1
	v_addc_co_u32_e32 v13, vcc, v18, v13, vcc
	v_lshlrev_b64 v[2:3], 3, v[2:3]
	s_cselect_b64 s[6:7], -1, 0
	s_cmp_eq_u32 s20, 0
	v_add_co_u32_e32 v0, vcc, s24, v2
	v_bfe_u32 v19, v1, 3, 1
	v_addc_co_u32_e32 v2, vcc, v16, v3, vcc
	v_and_b32_e32 v1, -8, v1
	s_cselect_b64 s[4:5], -1, 0
	v_add_co_u32_e32 v14, vcc, v0, v1
	v_cndmask_b32_e64 v0, 0, 1, s[4:5]
	v_addc_co_u32_e32 v15, vcc, 0, v2, vcc
	v_lshlrev_b32_e32 v0, v0, v19
	v_subrev_co_u32_e32 v36, vcc, s17, v10
	v_lshlrev_b32_e32 v1, 3, v0
	s_and_b64 s[4:5], s[4:5], exec
	v_subb_co_u32_e64 v37, s[4:5], 0, 0, vcc
	v_mov_b32_e32 v2, s13
	v_add_co_u32_e32 v38, vcc, s12, v1
	s_cselect_b32 s16, 1, 2
	v_addc_co_u32_e32 v39, vcc, 0, v2, vcc
	v_add_co_u32_e32 v40, vcc, s16, v0
	s_mov_b32 s25, s17
	v_lshl_or_b32 v31, v10, 2, v30
	s_mov_b64 s[14:15], 0
	v_cmp_neq_f64_e64 s[2:3], 0, v[6:7]
	v_addc_co_u32_e64 v41, s[4:5], 0, 0, vcc
	v_mov_b32_e32 v42, s9
	s_branch .LBB4_8
.LBB4_7:                                ;   in Loop: Header=BB4_8 Depth=1
	s_or_b64 exec, exec, s[4:5]
	v_add_u32_e32 v8, v8, v11
	v_cmp_le_i32_e32 vcc, s21, v8
	s_or_b64 s[14:15], vcc, s[14:15]
	s_andn2_b64 exec, exec, s[14:15]
	s_cbranch_execz .LBB4_27
.LBB4_8:                                ; =>This Loop Header: Depth=1
                                        ;     Child Loop BB4_11 Depth 2
	v_lshlrev_b64 v[0:1], 3, v[8:9]
	v_add_co_u32_e32 v0, vcc, s8, v0
	v_addc_co_u32_e32 v1, vcc, v42, v1, vcc
	global_load_dwordx4 v[0:3], v[0:1], off
	v_pk_mov_b32 v[20:21], 0, 0
	s_waitcnt vmcnt(0)
	v_cmp_lt_i64_e32 vcc, v[0:1], v[2:3]
	s_and_saveexec_b64 s[18:19], vcc
	s_cbranch_execz .LBB4_16
; %bb.9:                                ;   in Loop: Header=BB4_8 Depth=1
	v_mov_b32_e32 v17, s28
	v_subrev_co_u32_e32 v2, vcc, s25, v2
	v_subb_co_u32_e32 v3, vcc, v3, v17, vcc
	v_subrev_co_u32_e32 v16, vcc, s25, v0
	v_subb_co_u32_e32 v17, vcc, v1, v17, vcc
	v_add_co_u32_e32 v18, vcc, v36, v0
	v_addc_co_u32_e32 v19, vcc, v37, v1, vcc
	v_lshlrev_b64 v[20:21], 2, v[18:19]
	v_mov_b32_e32 v1, s11
	v_add_co_u32_e32 v0, vcc, s10, v20
	v_addc_co_u32_e32 v1, vcc, v1, v21, vcc
	v_lshlrev_b64 v[18:19], 5, v[18:19]
	v_add_co_u32_e32 v18, vcc, v38, v18
	v_addc_co_u32_e32 v19, vcc, v39, v19, vcc
	v_add_co_u32_e32 v20, vcc, v40, v20
	v_addc_co_u32_e32 v21, vcc, v41, v21, vcc
	v_lshlrev_b64 v[20:21], 3, v[20:21]
	v_mov_b32_e32 v23, s13
	v_add_co_u32_e32 v22, vcc, s12, v20
	v_pk_mov_b32 v[24:25], 0, 0
	v_addc_co_u32_e32 v23, vcc, v23, v21, vcc
	s_mov_b64 s[22:23], 0
	v_pk_mov_b32 v[20:21], v[24:25], v[24:25] op_sel:[0,1]
	s_branch .LBB4_11
.LBB4_10:                               ;   in Loop: Header=BB4_11 Depth=2
	s_or_b64 exec, exec, s[4:5]
	v_add_co_u32_e32 v16, vcc, 8, v16
	v_addc_co_u32_e32 v17, vcc, 0, v17, vcc
	v_add_co_u32_e32 v0, vcc, 32, v0
	v_addc_co_u32_e32 v1, vcc, 0, v1, vcc
	;; [unrolled: 2-line block ×3, first 2 shown]
	v_add_co_u32_e32 v22, vcc, 0x100, v22
	v_cmp_ge_i64_e64 s[4:5], v[16:17], v[2:3]
	s_or_b64 s[22:23], s[4:5], s[22:23]
	v_addc_co_u32_e32 v23, vcc, 0, v23, vcc
	s_andn2_b64 exec, exec, s[22:23]
	s_cbranch_execz .LBB4_15
.LBB4_11:                               ;   Parent Loop BB4_8 Depth=1
                                        ; =>  This Inner Loop Header: Depth=2
	v_add_co_u32_e32 v26, vcc, v10, v16
	v_addc_co_u32_e32 v27, vcc, 0, v17, vcc
	v_cmp_lt_i64_e32 vcc, v[26:27], v[2:3]
	v_mov_b32_e32 v43, 0
	v_pk_mov_b32 v[26:27], v[24:25], v[24:25] op_sel:[0,1]
	v_pk_mov_b32 v[28:29], v[24:25], v[24:25] op_sel:[0,1]
	s_and_saveexec_b64 s[4:5], vcc
	s_cbranch_execz .LBB4_13
; %bb.12:                               ;   in Loop: Header=BB4_11 Depth=2
	global_load_dword v43, v[0:1], off
	global_load_dwordx2 v[26:27], v[18:19], off
	global_load_dwordx2 v[28:29], v[22:23], off
	s_waitcnt vmcnt(2)
	v_subrev_u32_e32 v43, s17, v43
	v_lshlrev_b32_e32 v43, 1, v43
.LBB4_13:                               ;   in Loop: Header=BB4_11 Depth=2
	s_or_b64 exec, exec, s[4:5]
	ds_write_b32 v31, v43
	s_waitcnt vmcnt(0)
	ds_write2_b64 v32, v[26:27], v[28:29] offset1:1
	s_waitcnt lgkmcnt(0)
	; wave barrier
	s_waitcnt lgkmcnt(0)
	s_and_saveexec_b64 s[4:5], s[0:1]
	s_cbranch_execz .LBB4_10
; %bb.14:                               ;   in Loop: Header=BB4_11 Depth=2
	ds_read_b128 v[26:29], v30
	ds_read_b128 v[44:47], v30 offset:16
	s_waitcnt lgkmcnt(1)
	v_ashrrev_i32_e32 v49, 31, v26
	v_mov_b32_e32 v48, v26
	v_lshlrev_b64 v[48:49], 3, v[48:49]
	v_add_co_u32_e32 v56, vcc, v34, v48
	v_addc_co_u32_e32 v57, vcc, v35, v49, vcc
	v_ashrrev_i32_e32 v49, 31, v27
	v_mov_b32_e32 v48, v27
	v_lshlrev_b64 v[26:27], 3, v[48:49]
	v_add_co_u32_e32 v26, vcc, v34, v26
	v_addc_co_u32_e32 v27, vcc, v35, v27, vcc
	global_load_dwordx4 v[48:51], v[56:57], off
	global_load_dwordx4 v[52:55], v[26:27], off
	v_ashrrev_i32_e32 v27, 31, v28
	v_mov_b32_e32 v26, v28
	v_lshlrev_b64 v[26:27], 3, v[26:27]
	v_add_co_u32_e32 v60, vcc, v34, v26
	v_addc_co_u32_e32 v61, vcc, v35, v27, vcc
	v_ashrrev_i32_e32 v27, 31, v29
	v_mov_b32_e32 v26, v29
	v_lshlrev_b64 v[26:27], 3, v[26:27]
	v_add_co_u32_e32 v62, vcc, v34, v26
	v_addc_co_u32_e32 v63, vcc, v35, v27, vcc
	global_load_dwordx4 v[26:29], v[60:61], off
	global_load_dwordx4 v[56:59], v[62:63], off
	s_waitcnt lgkmcnt(0)
	v_ashrrev_i32_e32 v61, 31, v44
	v_mov_b32_e32 v60, v44
	v_lshlrev_b64 v[60:61], 3, v[60:61]
	v_add_co_u32_e32 v68, vcc, v34, v60
	v_addc_co_u32_e32 v69, vcc, v35, v61, vcc
	v_ashrrev_i32_e32 v61, 31, v45
	v_mov_b32_e32 v60, v45
	v_lshlrev_b64 v[44:45], 3, v[60:61]
	v_add_co_u32_e32 v44, vcc, v34, v44
	v_addc_co_u32_e32 v45, vcc, v35, v45, vcc
	global_load_dwordx4 v[60:63], v[68:69], off
	global_load_dwordx4 v[64:67], v[44:45], off
	v_ashrrev_i32_e32 v45, 31, v46
	v_mov_b32_e32 v44, v46
	v_lshlrev_b64 v[44:45], 3, v[44:45]
	v_add_co_u32_e32 v44, vcc, v34, v44
	v_addc_co_u32_e32 v45, vcc, v35, v45, vcc
	global_load_dwordx4 v[68:71], v[44:45], off
	v_ashrrev_i32_e32 v45, 31, v47
	v_mov_b32_e32 v44, v47
	v_lshlrev_b64 v[44:45], 3, v[44:45]
	v_add_co_u32_e32 v44, vcc, v34, v44
	v_addc_co_u32_e32 v45, vcc, v35, v45, vcc
	global_load_dwordx4 v[44:47], v[44:45], off
	ds_read_b128 v[72:75], v33
	ds_read2_b64 v[76:79], v33 offset0:3 offset1:4
	ds_read_b128 v[80:83], v33 offset:48
	ds_read2_b64 v[84:87], v33 offset0:9 offset1:10
	ds_read_b128 v[88:91], v33 offset:96
	ds_read2_b64 v[92:95], v33 offset0:15 offset1:16
	s_waitcnt vmcnt(7) lgkmcnt(5)
	v_fmac_f64_e32 v[20:21], v[72:73], v[48:49]
	v_fmac_f64_e32 v[20:21], v[74:75], v[50:51]
	s_waitcnt vmcnt(6) lgkmcnt(4)
	v_fmac_f64_e32 v[20:21], v[76:77], v[52:53]
	v_fmac_f64_e32 v[20:21], v[78:79], v[54:55]
	ds_read2_b64 v[48:51], v33 offset0:21 offset1:22
	s_waitcnt vmcnt(5) lgkmcnt(4)
	v_fmac_f64_e32 v[20:21], v[80:81], v[26:27]
	v_fmac_f64_e32 v[20:21], v[82:83], v[28:29]
	s_waitcnt vmcnt(4) lgkmcnt(3)
	v_fmac_f64_e32 v[20:21], v[84:85], v[56:57]
	v_fmac_f64_e32 v[20:21], v[86:87], v[58:59]
	ds_read_b128 v[26:29], v33 offset:144
	s_waitcnt vmcnt(3) lgkmcnt(3)
	v_fmac_f64_e32 v[20:21], v[88:89], v[60:61]
	v_fmac_f64_e32 v[20:21], v[90:91], v[62:63]
	s_waitcnt vmcnt(2) lgkmcnt(2)
	v_fmac_f64_e32 v[20:21], v[92:93], v[64:65]
	v_fmac_f64_e32 v[20:21], v[94:95], v[66:67]
	;; [unrolled: 3-line block ×3, first 2 shown]
	s_waitcnt vmcnt(0)
	v_fmac_f64_e32 v[20:21], v[48:49], v[44:45]
	v_fmac_f64_e32 v[20:21], v[50:51], v[46:47]
	s_branch .LBB4_10
.LBB4_15:                               ;   in Loop: Header=BB4_8 Depth=1
	s_or_b64 exec, exec, s[22:23]
.LBB4_16:                               ;   in Loop: Header=BB4_8 Depth=1
	s_or_b64 exec, exec, s[18:19]
	s_and_saveexec_b64 s[4:5], s[0:1]
	s_cbranch_execz .LBB4_7
; %bb.17:                               ;   in Loop: Header=BB4_8 Depth=1
	v_mul_f64 v[0:1], v[4:5], v[20:21]
	s_and_saveexec_b64 s[18:19], s[2:3]
	s_xor_b64 s[18:19], exec, s[18:19]
	s_cbranch_execz .LBB4_22
; %bb.18:                               ;   in Loop: Header=BB4_8 Depth=1
	s_mov_b64 s[22:23], -1
	s_and_b64 vcc, exec, s[6:7]
	s_cbranch_vccz .LBB4_20
; %bb.19:                               ;   in Loop: Header=BB4_8 Depth=1
	global_load_dwordx2 v[2:3], v[12:13], off
	s_mov_b64 s[22:23], 0
	s_waitcnt vmcnt(0)
	v_fma_f64 v[2:3], v[6:7], v[2:3], v[0:1]
	global_store_dwordx2 v[12:13], v[2:3], off
.LBB4_20:                               ;   in Loop: Header=BB4_8 Depth=1
	s_andn2_b64 vcc, exec, s[22:23]
	s_cbranch_vccnz .LBB4_22
; %bb.21:                               ;   in Loop: Header=BB4_8 Depth=1
	global_load_dwordx2 v[2:3], v[14:15], off
	s_waitcnt vmcnt(0)
	v_fmac_f64_e32 v[0:1], v[6:7], v[2:3]
	global_store_dwordx2 v[14:15], v[0:1], off
                                        ; implicit-def: $vgpr0_vgpr1
.LBB4_22:                               ;   in Loop: Header=BB4_8 Depth=1
	s_andn2_saveexec_b64 s[18:19], s[18:19]
	s_cbranch_execz .LBB4_7
; %bb.23:                               ;   in Loop: Header=BB4_8 Depth=1
	s_mov_b64 s[18:19], -1
	s_and_b64 vcc, exec, s[6:7]
	s_cbranch_vccz .LBB4_25
; %bb.24:                               ;   in Loop: Header=BB4_8 Depth=1
	global_store_dwordx2 v[12:13], v[0:1], off
	s_mov_b64 s[18:19], 0
.LBB4_25:                               ;   in Loop: Header=BB4_8 Depth=1
	s_andn2_b64 vcc, exec, s[18:19]
	s_cbranch_vccnz .LBB4_7
; %bb.26:                               ;   in Loop: Header=BB4_8 Depth=1
	global_store_dwordx2 v[14:15], v[0:1], off
	s_branch .LBB4_7
.LBB4_27:
	s_endpgm
	.section	.rodata,"a",@progbits
	.p2align	6, 0x0
	.amdhsa_kernel _ZN9rocsparseL29bsrmmnn_small_blockdim_kernelILj64ELj8ELj2EliddddEEv20rocsparse_direction_T3_S2_llNS_24const_host_device_scalarIT7_EEPKT2_PKS2_PKT4_PKT5_llS5_PT6_ll16rocsparse_order_21rocsparse_index_base_b
		.amdhsa_group_segment_fixed_size 1792
		.amdhsa_private_segment_fixed_size 0
		.amdhsa_kernarg_size 392
		.amdhsa_user_sgpr_count 6
		.amdhsa_user_sgpr_private_segment_buffer 1
		.amdhsa_user_sgpr_dispatch_ptr 0
		.amdhsa_user_sgpr_queue_ptr 0
		.amdhsa_user_sgpr_kernarg_segment_ptr 1
		.amdhsa_user_sgpr_dispatch_id 0
		.amdhsa_user_sgpr_flat_scratch_init 0
		.amdhsa_user_sgpr_kernarg_preload_length 0
		.amdhsa_user_sgpr_kernarg_preload_offset 0
		.amdhsa_user_sgpr_private_segment_size 0
		.amdhsa_uses_dynamic_stack 0
		.amdhsa_system_sgpr_private_segment_wavefront_offset 0
		.amdhsa_system_sgpr_workgroup_id_x 1
		.amdhsa_system_sgpr_workgroup_id_y 1
		.amdhsa_system_sgpr_workgroup_id_z 0
		.amdhsa_system_sgpr_workgroup_info 0
		.amdhsa_system_vgpr_workitem_id 0
		.amdhsa_next_free_vgpr 96
		.amdhsa_next_free_sgpr 29
		.amdhsa_accum_offset 96
		.amdhsa_reserve_vcc 1
		.amdhsa_reserve_flat_scratch 0
		.amdhsa_float_round_mode_32 0
		.amdhsa_float_round_mode_16_64 0
		.amdhsa_float_denorm_mode_32 3
		.amdhsa_float_denorm_mode_16_64 3
		.amdhsa_dx10_clamp 1
		.amdhsa_ieee_mode 1
		.amdhsa_fp16_overflow 0
		.amdhsa_tg_split 0
		.amdhsa_exception_fp_ieee_invalid_op 0
		.amdhsa_exception_fp_denorm_src 0
		.amdhsa_exception_fp_ieee_div_zero 0
		.amdhsa_exception_fp_ieee_overflow 0
		.amdhsa_exception_fp_ieee_underflow 0
		.amdhsa_exception_fp_ieee_inexact 0
		.amdhsa_exception_int_div_zero 0
	.end_amdhsa_kernel
	.section	.text._ZN9rocsparseL29bsrmmnn_small_blockdim_kernelILj64ELj8ELj2EliddddEEv20rocsparse_direction_T3_S2_llNS_24const_host_device_scalarIT7_EEPKT2_PKS2_PKT4_PKT5_llS5_PT6_ll16rocsparse_order_21rocsparse_index_base_b,"axG",@progbits,_ZN9rocsparseL29bsrmmnn_small_blockdim_kernelILj64ELj8ELj2EliddddEEv20rocsparse_direction_T3_S2_llNS_24const_host_device_scalarIT7_EEPKT2_PKS2_PKT4_PKT5_llS5_PT6_ll16rocsparse_order_21rocsparse_index_base_b,comdat
.Lfunc_end4:
	.size	_ZN9rocsparseL29bsrmmnn_small_blockdim_kernelILj64ELj8ELj2EliddddEEv20rocsparse_direction_T3_S2_llNS_24const_host_device_scalarIT7_EEPKT2_PKS2_PKT4_PKT5_llS5_PT6_ll16rocsparse_order_21rocsparse_index_base_b, .Lfunc_end4-_ZN9rocsparseL29bsrmmnn_small_blockdim_kernelILj64ELj8ELj2EliddddEEv20rocsparse_direction_T3_S2_llNS_24const_host_device_scalarIT7_EEPKT2_PKS2_PKT4_PKT5_llS5_PT6_ll16rocsparse_order_21rocsparse_index_base_b
                                        ; -- End function
	.section	.AMDGPU.csdata,"",@progbits
; Kernel info:
; codeLenInByte = 1612
; NumSgprs: 33
; NumVgprs: 96
; NumAgprs: 0
; TotalNumVgprs: 96
; ScratchSize: 0
; MemoryBound: 0
; FloatMode: 240
; IeeeMode: 1
; LDSByteSize: 1792 bytes/workgroup (compile time only)
; SGPRBlocks: 4
; VGPRBlocks: 11
; NumSGPRsForWavesPerEU: 33
; NumVGPRsForWavesPerEU: 96
; AccumOffset: 96
; Occupancy: 5
; WaveLimiterHint : 1
; COMPUTE_PGM_RSRC2:SCRATCH_EN: 0
; COMPUTE_PGM_RSRC2:USER_SGPR: 6
; COMPUTE_PGM_RSRC2:TRAP_HANDLER: 0
; COMPUTE_PGM_RSRC2:TGID_X_EN: 1
; COMPUTE_PGM_RSRC2:TGID_Y_EN: 1
; COMPUTE_PGM_RSRC2:TGID_Z_EN: 0
; COMPUTE_PGM_RSRC2:TIDIG_COMP_CNT: 0
; COMPUTE_PGM_RSRC3_GFX90A:ACCUM_OFFSET: 23
; COMPUTE_PGM_RSRC3_GFX90A:TG_SPLIT: 0
	.section	.text._ZN9rocsparseL29bsrmmnn_small_blockdim_kernelILj64ELj8ELj2EllddddEEv20rocsparse_direction_T3_S2_llNS_24const_host_device_scalarIT7_EEPKT2_PKS2_PKT4_PKT5_llS5_PT6_ll16rocsparse_order_21rocsparse_index_base_b,"axG",@progbits,_ZN9rocsparseL29bsrmmnn_small_blockdim_kernelILj64ELj8ELj2EllddddEEv20rocsparse_direction_T3_S2_llNS_24const_host_device_scalarIT7_EEPKT2_PKS2_PKT4_PKT5_llS5_PT6_ll16rocsparse_order_21rocsparse_index_base_b,comdat
	.globl	_ZN9rocsparseL29bsrmmnn_small_blockdim_kernelILj64ELj8ELj2EllddddEEv20rocsparse_direction_T3_S2_llNS_24const_host_device_scalarIT7_EEPKT2_PKS2_PKT4_PKT5_llS5_PT6_ll16rocsparse_order_21rocsparse_index_base_b ; -- Begin function _ZN9rocsparseL29bsrmmnn_small_blockdim_kernelILj64ELj8ELj2EllddddEEv20rocsparse_direction_T3_S2_llNS_24const_host_device_scalarIT7_EEPKT2_PKS2_PKT4_PKT5_llS5_PT6_ll16rocsparse_order_21rocsparse_index_base_b
	.p2align	8
	.type	_ZN9rocsparseL29bsrmmnn_small_blockdim_kernelILj64ELj8ELj2EllddddEEv20rocsparse_direction_T3_S2_llNS_24const_host_device_scalarIT7_EEPKT2_PKS2_PKT4_PKT5_llS5_PT6_ll16rocsparse_order_21rocsparse_index_base_b,@function
_ZN9rocsparseL29bsrmmnn_small_blockdim_kernelILj64ELj8ELj2EllddddEEv20rocsparse_direction_T3_S2_llNS_24const_host_device_scalarIT7_EEPKT2_PKS2_PKT4_PKT5_llS5_PT6_ll16rocsparse_order_21rocsparse_index_base_b: ; @_ZN9rocsparseL29bsrmmnn_small_blockdim_kernelILj64ELj8ELj2EllddddEEv20rocsparse_direction_T3_S2_llNS_24const_host_device_scalarIT7_EEPKT2_PKS2_PKT4_PKT5_llS5_PT6_ll16rocsparse_order_21rocsparse_index_base_b
; %bb.0:
	s_load_dwordx4 s[20:23], s[4:5], 0x80
	s_load_dwordx2 s[8:9], s[4:5], 0x28
	s_load_dwordx2 s[0:1], s[4:5], 0x60
	s_waitcnt lgkmcnt(0)
	s_bitcmp1_b32 s22, 0
	s_cselect_b64 s[10:11], -1, 0
	s_xor_b64 s[2:3], s[10:11], -1
	s_and_b64 vcc, exec, s[10:11]
	v_pk_mov_b32 v[4:5], s[8:9], s[8:9] op_sel:[0,1]
	s_cbranch_vccnz .LBB5_2
; %bb.1:
	v_pk_mov_b32 v[2:3], s[8:9], s[8:9] op_sel:[0,1]
	flat_load_dwordx2 v[4:5], v[2:3]
.LBB5_2:
	s_andn2_b64 vcc, exec, s[2:3]
	v_pk_mov_b32 v[6:7], s[0:1], s[0:1] op_sel:[0,1]
	s_cbranch_vccnz .LBB5_4
; %bb.3:
	v_pk_mov_b32 v[2:3], s[0:1], s[0:1] op_sel:[0,1]
	flat_load_dwordx2 v[6:7], v[2:3]
.LBB5_4:
	s_waitcnt vmcnt(0) lgkmcnt(0)
	v_cmp_neq_f64_e32 vcc, 0, v[4:5]
	v_cmp_neq_f64_e64 s[0:1], 1.0, v[6:7]
	s_or_b64 s[0:1], vcc, s[0:1]
	s_and_saveexec_b64 s[2:3], s[0:1]
	s_cbranch_execz .LBB5_27
; %bb.5:
	s_load_dword s0, s[4:5], 0x90
	s_load_dwordx4 s[16:19], s[4:5], 0x8
	s_add_u32 s1, s4, 0x90
	s_addc_u32 s3, s5, 0
	v_mov_b32_e32 v9, 0
	s_waitcnt lgkmcnt(0)
	s_cmp_lt_u32 s6, s0
	s_cselect_b32 s2, 12, 18
	s_add_u32 s2, s1, s2
	s_addc_u32 s3, s3, 0
	global_load_ushort v2, v9, s[2:3]
	s_mov_b32 s22, 0
	s_waitcnt vmcnt(0)
	v_mul_lo_u32 v1, s6, v2
	v_add_u32_e32 v1, v1, v0
	v_lshrrev_b32_e32 v8, 4, v1
	v_cmp_gt_i64_e32 vcc, s[16:17], v[8:9]
	s_and_b64 exec, exec, vcc
	s_cbranch_execz .LBB5_27
; %bb.6:
	s_load_dwordx8 s[8:15], s[4:5], 0x30
	s_load_dwordx4 s[24:27], s[4:5], 0x68
	s_load_dwordx2 s[2:3], s[4:5], 0x50
	v_and_b32_e32 v10, 7, v1
	v_mul_lo_u32 v2, s0, v2
	v_lshrrev_b32_e32 v11, 4, v2
	v_lshl_or_b32 v2, s7, 3, v10
	s_waitcnt lgkmcnt(0)
	v_mad_u64_u32 v[16:17], s[0:1], v2, s2, 0
	v_mov_b32_e32 v12, v17
	v_mad_u64_u32 v[12:13], s[0:1], v2, s3, v[12:13]
	s_load_dword s0, s[4:5], 0x0
	v_mov_b32_e32 v3, v9
	v_mov_b32_e32 v17, v12
	v_lshlrev_b64 v[12:13], 3, v[2:3]
	v_lshrrev_b32_e32 v0, 3, v0
	v_add_co_u32_e32 v21, vcc, s24, v12
	v_mov_b32_e32 v12, 0x600
	v_lshl_or_b32 v32, v0, 6, v12
	s_cmp_lg_u32 s20, 1
	v_mul_u32_u24_e32 v12, 3, v10
	v_lshrrev_b32_e32 v14, 3, v1
	v_mov_b32_e32 v20, s25
	s_cselect_b64 s[6:7], -1, 0
	s_waitcnt lgkmcnt(0)
	s_cmp_eq_u32 s0, 0
	v_lshlrev_b32_e32 v12, 3, v12
	s_movk_i32 s0, 0xc0
	v_addc_co_u32_e32 v22, vcc, v20, v13, vcc
	v_mad_u32_u24 v34, v0, s0, v12
	v_mad_u64_u32 v[12:13], s[4:5], v14, s26, 0
	v_mul_u32_u24_e32 v35, 0xc0, v0
	v_mov_b32_e32 v0, v13
	v_mad_u64_u32 v[14:15], s[4:5], v14, s27, v[0:1]
	v_mov_b32_e32 v13, v14
	v_lshlrev_b64 v[12:13], 3, v[12:13]
	v_mad_u64_u32 v[14:15], s[4:5], v2, s26, 0
	v_add_co_u32_e32 v12, vcc, v21, v12
	v_mov_b32_e32 v0, v15
	v_cmp_gt_i64_e64 s[0:1], s[18:19], v[2:3]
	v_addc_co_u32_e32 v13, vcc, v22, v13, vcc
	v_mad_u64_u32 v[2:3], s[4:5], v2, s27, v[0:1]
	v_and_b32_e32 v0, -8, v1
	v_mov_b32_e32 v15, v2
	v_add_co_u32_e32 v2, vcc, s24, v0
	v_bfe_u32 v18, v1, 3, 1
	v_addc_co_u32_e32 v3, vcc, 0, v20, vcc
	v_lshlrev_b64 v[0:1], 3, v[14:15]
	v_add_co_u32_e32 v14, vcc, v2, v0
	v_addc_co_u32_e32 v15, vcc, v3, v1, vcc
	s_cselect_b64 s[4:5], -1, 0
	v_lshlrev_b64 v[2:3], 3, v[16:17]
	v_mov_b32_e32 v19, v9
	v_cndmask_b32_e64 v0, 0, 1, s[4:5]
	v_mov_b32_e32 v16, s15
	v_add_co_u32_e32 v36, vcc, s14, v2
	v_lshlrev_b64 v[0:1], v0, v[18:19]
	v_addc_co_u32_e32 v37, vcc, v16, v3, vcc
	v_subrev_co_u32_e32 v38, vcc, s21, v10
	v_lshlrev_b64 v[2:3], 3, v[0:1]
	s_and_b64 s[4:5], s[4:5], exec
	v_subb_co_u32_e64 v39, s[4:5], 0, 0, vcc
	v_mov_b32_e32 v16, s13
	v_add_co_u32_e32 v40, vcc, s12, v2
	s_cselect_b32 s20, 1, 2
	v_addc_co_u32_e32 v41, vcc, v16, v3, vcc
	v_add_co_u32_e32 v42, vcc, s20, v0
	s_mov_b32 s23, s21
	v_lshl_or_b32 v33, v10, 3, v32
	s_mov_b64 s[18:19], 0
	v_cmp_neq_f64_e64 s[2:3], 0, v[6:7]
	v_addc_co_u32_e32 v43, vcc, 0, v1, vcc
	s_branch .LBB5_8
.LBB5_7:                                ;   in Loop: Header=BB5_8 Depth=1
	s_or_b64 exec, exec, s[4:5]
	v_add_co_u32_e32 v8, vcc, v8, v11
	v_addc_co_u32_e32 v9, vcc, 0, v9, vcc
	v_cmp_le_i64_e32 vcc, s[16:17], v[8:9]
	s_or_b64 s[18:19], vcc, s[18:19]
	s_andn2_b64 exec, exec, s[18:19]
	s_cbranch_execz .LBB5_27
.LBB5_8:                                ; =>This Loop Header: Depth=1
                                        ;     Child Loop BB5_11 Depth 2
	v_lshlrev_b64 v[0:1], 3, v[8:9]
	v_mov_b32_e32 v2, s9
	v_add_co_u32_e32 v0, vcc, s8, v0
	v_addc_co_u32_e32 v1, vcc, v2, v1, vcc
	global_load_dwordx4 v[0:3], v[0:1], off
	v_pk_mov_b32 v[20:21], 0, 0
	s_waitcnt vmcnt(0)
	v_cmp_lt_i64_e32 vcc, v[0:1], v[2:3]
	s_and_saveexec_b64 s[14:15], vcc
	s_cbranch_execz .LBB5_16
; %bb.9:                                ;   in Loop: Header=BB5_8 Depth=1
	v_mov_b32_e32 v17, s22
	v_subrev_co_u32_e32 v2, vcc, s23, v2
	v_subb_co_u32_e32 v3, vcc, v3, v17, vcc
	v_subrev_co_u32_e32 v16, vcc, s23, v0
	v_subb_co_u32_e32 v17, vcc, v1, v17, vcc
	v_add_co_u32_e32 v20, vcc, v38, v0
	v_addc_co_u32_e32 v21, vcc, v39, v1, vcc
	v_lshlrev_b64 v[0:1], 3, v[20:21]
	v_mov_b32_e32 v18, s11
	v_add_co_u32_e32 v0, vcc, s10, v0
	v_addc_co_u32_e32 v1, vcc, v18, v1, vcc
	v_lshlrev_b64 v[18:19], 5, v[20:21]
	v_add_co_u32_e32 v18, vcc, v40, v18
	v_addc_co_u32_e32 v19, vcc, v41, v19, vcc
	v_lshlrev_b64 v[20:21], 2, v[20:21]
	;; [unrolled: 3-line block ×3, first 2 shown]
	v_mov_b32_e32 v23, s13
	v_add_co_u32_e32 v22, vcc, s12, v20
	v_pk_mov_b32 v[24:25], 0, 0
	v_addc_co_u32_e32 v23, vcc, v23, v21, vcc
	s_mov_b64 s[20:21], 0
	v_pk_mov_b32 v[20:21], v[24:25], v[24:25] op_sel:[0,1]
	s_branch .LBB5_11
.LBB5_10:                               ;   in Loop: Header=BB5_11 Depth=2
	s_or_b64 exec, exec, s[4:5]
	v_add_co_u32_e32 v16, vcc, 8, v16
	v_addc_co_u32_e32 v17, vcc, 0, v17, vcc
	v_add_co_u32_e32 v0, vcc, 64, v0
	v_addc_co_u32_e32 v1, vcc, 0, v1, vcc
	;; [unrolled: 2-line block ×3, first 2 shown]
	v_add_co_u32_e32 v22, vcc, 0x100, v22
	v_cmp_ge_i64_e64 s[4:5], v[16:17], v[2:3]
	s_or_b64 s[20:21], s[4:5], s[20:21]
	v_addc_co_u32_e32 v23, vcc, 0, v23, vcc
	s_andn2_b64 exec, exec, s[20:21]
	s_cbranch_execz .LBB5_15
.LBB5_11:                               ;   Parent Loop BB5_8 Depth=1
                                        ; =>  This Inner Loop Header: Depth=2
	v_add_co_u32_e32 v26, vcc, v10, v16
	v_addc_co_u32_e32 v27, vcc, 0, v17, vcc
	v_cmp_lt_i64_e32 vcc, v[26:27], v[2:3]
	v_pk_mov_b32 v[30:31], v[24:25], v[24:25] op_sel:[0,1]
	v_pk_mov_b32 v[26:27], v[24:25], v[24:25] op_sel:[0,1]
	;; [unrolled: 1-line block ×3, first 2 shown]
	s_and_saveexec_b64 s[4:5], vcc
	s_cbranch_execz .LBB5_13
; %bb.12:                               ;   in Loop: Header=BB5_11 Depth=2
	global_load_dwordx2 v[30:31], v[0:1], off
	global_load_dwordx2 v[26:27], v[18:19], off
	global_load_dwordx2 v[28:29], v[22:23], off
	v_mov_b32_e32 v44, s22
	s_waitcnt vmcnt(2)
	v_subrev_co_u32_e32 v30, vcc, s23, v30
	v_subb_co_u32_e32 v31, vcc, v31, v44, vcc
	v_lshlrev_b64 v[30:31], 1, v[30:31]
.LBB5_13:                               ;   in Loop: Header=BB5_11 Depth=2
	s_or_b64 exec, exec, s[4:5]
	ds_write_b64 v33, v[30:31]
	s_waitcnt vmcnt(0)
	ds_write2_b64 v34, v[26:27], v[28:29] offset1:1
	s_waitcnt lgkmcnt(0)
	; wave barrier
	s_waitcnt lgkmcnt(0)
	s_and_saveexec_b64 s[4:5], s[0:1]
	s_cbranch_execz .LBB5_10
; %bb.14:                               ;   in Loop: Header=BB5_11 Depth=2
	ds_read_b128 v[26:29], v32
	ds_read_b128 v[44:47], v32 offset:16
	ds_read_b128 v[48:51], v32 offset:32
	;; [unrolled: 1-line block ×3, first 2 shown]
	s_waitcnt lgkmcnt(3)
	v_lshlrev_b64 v[26:27], 3, v[26:27]
	v_add_co_u32_e32 v30, vcc, v36, v26
	v_addc_co_u32_e32 v31, vcc, v37, v27, vcc
	v_lshlrev_b64 v[26:27], 3, v[28:29]
	v_add_co_u32_e32 v60, vcc, v36, v26
	v_addc_co_u32_e32 v61, vcc, v37, v27, vcc
	global_load_dwordx4 v[26:29], v[30:31], off
	global_load_dwordx4 v[56:59], v[60:61], off
	s_waitcnt lgkmcnt(2)
	v_lshlrev_b64 v[30:31], 3, v[44:45]
	v_add_co_u32_e32 v30, vcc, v36, v30
	v_addc_co_u32_e32 v31, vcc, v37, v31, vcc
	v_lshlrev_b64 v[44:45], 3, v[46:47]
	v_add_co_u32_e32 v64, vcc, v36, v44
	v_addc_co_u32_e32 v65, vcc, v37, v45, vcc
	global_load_dwordx4 v[44:47], v[30:31], off
	global_load_dwordx4 v[60:63], v[64:65], off
	;; [unrolled: 9-line block ×3, first 2 shown]
	s_waitcnt lgkmcnt(0)
	v_lshlrev_b64 v[30:31], 3, v[52:53]
	v_add_co_u32_e32 v30, vcc, v36, v30
	v_addc_co_u32_e32 v31, vcc, v37, v31, vcc
	global_load_dwordx4 v[68:71], v[30:31], off
	v_lshlrev_b64 v[30:31], 3, v[54:55]
	v_add_co_u32_e32 v30, vcc, v36, v30
	v_addc_co_u32_e32 v31, vcc, v37, v31, vcc
	global_load_dwordx4 v[52:55], v[30:31], off
	ds_read_b128 v[72:75], v35
	ds_read2_b64 v[76:79], v35 offset0:3 offset1:4
	ds_read_b128 v[80:83], v35 offset:48
	ds_read2_b64 v[84:87], v35 offset0:9 offset1:10
	ds_read_b128 v[88:91], v35 offset:96
	ds_read2_b64 v[92:95], v35 offset0:15 offset1:16
	s_waitcnt vmcnt(7) lgkmcnt(5)
	v_fmac_f64_e32 v[20:21], v[72:73], v[26:27]
	v_fmac_f64_e32 v[20:21], v[74:75], v[28:29]
	s_waitcnt vmcnt(6) lgkmcnt(4)
	v_fmac_f64_e32 v[20:21], v[76:77], v[56:57]
	v_fmac_f64_e32 v[20:21], v[78:79], v[58:59]
	ds_read_b128 v[26:29], v35 offset:144
	s_waitcnt vmcnt(5) lgkmcnt(4)
	v_fmac_f64_e32 v[20:21], v[80:81], v[44:45]
	v_fmac_f64_e32 v[20:21], v[82:83], v[46:47]
	ds_read2_b64 v[44:47], v35 offset0:21 offset1:22
	s_waitcnt vmcnt(4) lgkmcnt(4)
	v_fmac_f64_e32 v[20:21], v[84:85], v[60:61]
	v_fmac_f64_e32 v[20:21], v[86:87], v[62:63]
	s_waitcnt vmcnt(3) lgkmcnt(3)
	v_fmac_f64_e32 v[20:21], v[88:89], v[48:49]
	v_fmac_f64_e32 v[20:21], v[90:91], v[50:51]
	;; [unrolled: 3-line block ×5, first 2 shown]
	s_branch .LBB5_10
.LBB5_15:                               ;   in Loop: Header=BB5_8 Depth=1
	s_or_b64 exec, exec, s[20:21]
.LBB5_16:                               ;   in Loop: Header=BB5_8 Depth=1
	s_or_b64 exec, exec, s[14:15]
	s_and_saveexec_b64 s[4:5], s[0:1]
	s_cbranch_execz .LBB5_7
; %bb.17:                               ;   in Loop: Header=BB5_8 Depth=1
	v_mul_f64 v[0:1], v[4:5], v[20:21]
	s_and_saveexec_b64 s[14:15], s[2:3]
	s_xor_b64 s[14:15], exec, s[14:15]
	s_cbranch_execz .LBB5_22
; %bb.18:                               ;   in Loop: Header=BB5_8 Depth=1
	s_mov_b64 s[20:21], -1
	s_and_b64 vcc, exec, s[6:7]
	s_cbranch_vccz .LBB5_20
; %bb.19:                               ;   in Loop: Header=BB5_8 Depth=1
	global_load_dwordx2 v[2:3], v[12:13], off
	s_mov_b64 s[20:21], 0
	s_waitcnt vmcnt(0)
	v_fma_f64 v[2:3], v[6:7], v[2:3], v[0:1]
	global_store_dwordx2 v[12:13], v[2:3], off
.LBB5_20:                               ;   in Loop: Header=BB5_8 Depth=1
	s_andn2_b64 vcc, exec, s[20:21]
	s_cbranch_vccnz .LBB5_22
; %bb.21:                               ;   in Loop: Header=BB5_8 Depth=1
	global_load_dwordx2 v[2:3], v[14:15], off
	s_waitcnt vmcnt(0)
	v_fmac_f64_e32 v[0:1], v[6:7], v[2:3]
	global_store_dwordx2 v[14:15], v[0:1], off
                                        ; implicit-def: $vgpr0_vgpr1
.LBB5_22:                               ;   in Loop: Header=BB5_8 Depth=1
	s_andn2_saveexec_b64 s[14:15], s[14:15]
	s_cbranch_execz .LBB5_7
; %bb.23:                               ;   in Loop: Header=BB5_8 Depth=1
	s_mov_b64 s[14:15], -1
	s_and_b64 vcc, exec, s[6:7]
	s_cbranch_vccz .LBB5_25
; %bb.24:                               ;   in Loop: Header=BB5_8 Depth=1
	global_store_dwordx2 v[12:13], v[0:1], off
	s_mov_b64 s[14:15], 0
.LBB5_25:                               ;   in Loop: Header=BB5_8 Depth=1
	s_andn2_b64 vcc, exec, s[14:15]
	s_cbranch_vccnz .LBB5_7
; %bb.26:                               ;   in Loop: Header=BB5_8 Depth=1
	global_store_dwordx2 v[14:15], v[0:1], off
	s_branch .LBB5_7
.LBB5_27:
	s_endpgm
	.section	.rodata,"a",@progbits
	.p2align	6, 0x0
	.amdhsa_kernel _ZN9rocsparseL29bsrmmnn_small_blockdim_kernelILj64ELj8ELj2EllddddEEv20rocsparse_direction_T3_S2_llNS_24const_host_device_scalarIT7_EEPKT2_PKS2_PKT4_PKT5_llS5_PT6_ll16rocsparse_order_21rocsparse_index_base_b
		.amdhsa_group_segment_fixed_size 2048
		.amdhsa_private_segment_fixed_size 0
		.amdhsa_kernarg_size 400
		.amdhsa_user_sgpr_count 6
		.amdhsa_user_sgpr_private_segment_buffer 1
		.amdhsa_user_sgpr_dispatch_ptr 0
		.amdhsa_user_sgpr_queue_ptr 0
		.amdhsa_user_sgpr_kernarg_segment_ptr 1
		.amdhsa_user_sgpr_dispatch_id 0
		.amdhsa_user_sgpr_flat_scratch_init 0
		.amdhsa_user_sgpr_kernarg_preload_length 0
		.amdhsa_user_sgpr_kernarg_preload_offset 0
		.amdhsa_user_sgpr_private_segment_size 0
		.amdhsa_uses_dynamic_stack 0
		.amdhsa_system_sgpr_private_segment_wavefront_offset 0
		.amdhsa_system_sgpr_workgroup_id_x 1
		.amdhsa_system_sgpr_workgroup_id_y 1
		.amdhsa_system_sgpr_workgroup_id_z 0
		.amdhsa_system_sgpr_workgroup_info 0
		.amdhsa_system_vgpr_workitem_id 0
		.amdhsa_next_free_vgpr 96
		.amdhsa_next_free_sgpr 28
		.amdhsa_accum_offset 96
		.amdhsa_reserve_vcc 1
		.amdhsa_reserve_flat_scratch 0
		.amdhsa_float_round_mode_32 0
		.amdhsa_float_round_mode_16_64 0
		.amdhsa_float_denorm_mode_32 3
		.amdhsa_float_denorm_mode_16_64 3
		.amdhsa_dx10_clamp 1
		.amdhsa_ieee_mode 1
		.amdhsa_fp16_overflow 0
		.amdhsa_tg_split 0
		.amdhsa_exception_fp_ieee_invalid_op 0
		.amdhsa_exception_fp_denorm_src 0
		.amdhsa_exception_fp_ieee_div_zero 0
		.amdhsa_exception_fp_ieee_overflow 0
		.amdhsa_exception_fp_ieee_underflow 0
		.amdhsa_exception_fp_ieee_inexact 0
		.amdhsa_exception_int_div_zero 0
	.end_amdhsa_kernel
	.section	.text._ZN9rocsparseL29bsrmmnn_small_blockdim_kernelILj64ELj8ELj2EllddddEEv20rocsparse_direction_T3_S2_llNS_24const_host_device_scalarIT7_EEPKT2_PKS2_PKT4_PKT5_llS5_PT6_ll16rocsparse_order_21rocsparse_index_base_b,"axG",@progbits,_ZN9rocsparseL29bsrmmnn_small_blockdim_kernelILj64ELj8ELj2EllddddEEv20rocsparse_direction_T3_S2_llNS_24const_host_device_scalarIT7_EEPKT2_PKS2_PKT4_PKT5_llS5_PT6_ll16rocsparse_order_21rocsparse_index_base_b,comdat
.Lfunc_end5:
	.size	_ZN9rocsparseL29bsrmmnn_small_blockdim_kernelILj64ELj8ELj2EllddddEEv20rocsparse_direction_T3_S2_llNS_24const_host_device_scalarIT7_EEPKT2_PKS2_PKT4_PKT5_llS5_PT6_ll16rocsparse_order_21rocsparse_index_base_b, .Lfunc_end5-_ZN9rocsparseL29bsrmmnn_small_blockdim_kernelILj64ELj8ELj2EllddddEEv20rocsparse_direction_T3_S2_llNS_24const_host_device_scalarIT7_EEPKT2_PKS2_PKT4_PKT5_llS5_PT6_ll16rocsparse_order_21rocsparse_index_base_b
                                        ; -- End function
	.section	.AMDGPU.csdata,"",@progbits
; Kernel info:
; codeLenInByte = 1604
; NumSgprs: 32
; NumVgprs: 96
; NumAgprs: 0
; TotalNumVgprs: 96
; ScratchSize: 0
; MemoryBound: 0
; FloatMode: 240
; IeeeMode: 1
; LDSByteSize: 2048 bytes/workgroup (compile time only)
; SGPRBlocks: 3
; VGPRBlocks: 11
; NumSGPRsForWavesPerEU: 32
; NumVGPRsForWavesPerEU: 96
; AccumOffset: 96
; Occupancy: 5
; WaveLimiterHint : 1
; COMPUTE_PGM_RSRC2:SCRATCH_EN: 0
; COMPUTE_PGM_RSRC2:USER_SGPR: 6
; COMPUTE_PGM_RSRC2:TRAP_HANDLER: 0
; COMPUTE_PGM_RSRC2:TGID_X_EN: 1
; COMPUTE_PGM_RSRC2:TGID_Y_EN: 1
; COMPUTE_PGM_RSRC2:TGID_Z_EN: 0
; COMPUTE_PGM_RSRC2:TIDIG_COMP_CNT: 0
; COMPUTE_PGM_RSRC3_GFX90A:ACCUM_OFFSET: 23
; COMPUTE_PGM_RSRC3_GFX90A:TG_SPLIT: 0
	.section	.text._ZN9rocsparseL29bsrmmnn_small_blockdim_kernelILj64ELj8ELj2Eii21rocsparse_complex_numIfES2_S2_S2_EEv20rocsparse_direction_T3_S4_llNS_24const_host_device_scalarIT7_EEPKT2_PKS4_PKT4_PKT5_llS7_PT6_ll16rocsparse_order_21rocsparse_index_base_b,"axG",@progbits,_ZN9rocsparseL29bsrmmnn_small_blockdim_kernelILj64ELj8ELj2Eii21rocsparse_complex_numIfES2_S2_S2_EEv20rocsparse_direction_T3_S4_llNS_24const_host_device_scalarIT7_EEPKT2_PKS4_PKT4_PKT5_llS7_PT6_ll16rocsparse_order_21rocsparse_index_base_b,comdat
	.globl	_ZN9rocsparseL29bsrmmnn_small_blockdim_kernelILj64ELj8ELj2Eii21rocsparse_complex_numIfES2_S2_S2_EEv20rocsparse_direction_T3_S4_llNS_24const_host_device_scalarIT7_EEPKT2_PKS4_PKT4_PKT5_llS7_PT6_ll16rocsparse_order_21rocsparse_index_base_b ; -- Begin function _ZN9rocsparseL29bsrmmnn_small_blockdim_kernelILj64ELj8ELj2Eii21rocsparse_complex_numIfES2_S2_S2_EEv20rocsparse_direction_T3_S4_llNS_24const_host_device_scalarIT7_EEPKT2_PKS4_PKT4_PKT5_llS7_PT6_ll16rocsparse_order_21rocsparse_index_base_b
	.p2align	8
	.type	_ZN9rocsparseL29bsrmmnn_small_blockdim_kernelILj64ELj8ELj2Eii21rocsparse_complex_numIfES2_S2_S2_EEv20rocsparse_direction_T3_S4_llNS_24const_host_device_scalarIT7_EEPKT2_PKS4_PKT4_PKT5_llS7_PT6_ll16rocsparse_order_21rocsparse_index_base_b,@function
_ZN9rocsparseL29bsrmmnn_small_blockdim_kernelILj64ELj8ELj2Eii21rocsparse_complex_numIfES2_S2_S2_EEv20rocsparse_direction_T3_S4_llNS_24const_host_device_scalarIT7_EEPKT2_PKS4_PKT4_PKT5_llS7_PT6_ll16rocsparse_order_21rocsparse_index_base_b: ; @_ZN9rocsparseL29bsrmmnn_small_blockdim_kernelILj64ELj8ELj2Eii21rocsparse_complex_numIfES2_S2_S2_EEv20rocsparse_direction_T3_S4_llNS_24const_host_device_scalarIT7_EEPKT2_PKS4_PKT4_PKT5_llS7_PT6_ll16rocsparse_order_21rocsparse_index_base_b
; %bb.0:
	s_load_dwordx4 s[16:19], s[4:5], 0x78
	s_load_dwordx2 s[8:9], s[4:5], 0x20
	s_load_dwordx2 s[2:3], s[4:5], 0x58
	s_waitcnt lgkmcnt(0)
	s_bitcmp1_b32 s18, 0
	s_cselect_b64 s[0:1], -1, 0
	s_xor_b64 s[10:11], s[0:1], -1
	s_and_b64 vcc, exec, s[0:1]
	v_mov_b32_e32 v2, s8
	s_cbranch_vccnz .LBB6_2
; %bb.1:
	v_pk_mov_b32 v[2:3], s[8:9], s[8:9] op_sel:[0,1]
	flat_load_dword v2, v[2:3]
.LBB6_2:
	v_cndmask_b32_e64 v1, 0, 1, s[10:11]
	v_cmp_ne_u32_e64 s[0:1], 1, v1
	s_andn2_b64 vcc, exec, s[10:11]
	v_mov_b32_e32 v3, s9
	s_cbranch_vccz .LBB6_32
; %bb.3:
	s_and_b64 vcc, exec, s[0:1]
	v_mov_b32_e32 v4, s2
	s_cbranch_vccz .LBB6_33
.LBB6_4:
	s_and_b64 vcc, exec, s[0:1]
	v_mov_b32_e32 v5, s3
	s_cbranch_vccnz .LBB6_6
.LBB6_5:
	v_pk_mov_b32 v[6:7], s[2:3], s[2:3] op_sel:[0,1]
	flat_load_dword v5, v[6:7] offset:4
.LBB6_6:
	s_waitcnt vmcnt(0) lgkmcnt(0)
	v_and_b32_e32 v1, 0x7fffffff, v2
	v_cmp_eq_u32_e32 vcc, 0, v1
	v_cmp_eq_f32_e64 s[0:1], 0, v3
	s_and_b64 s[8:9], vcc, s[0:1]
	s_mov_b64 s[0:1], -1
	s_and_saveexec_b64 s[2:3], s[8:9]
; %bb.7:
	v_and_b32_e32 v1, 0x7fffffff, v5
	v_cmp_neq_f32_e32 vcc, 1.0, v4
	v_cmp_ne_u32_e64 s[0:1], 0, v1
	s_or_b64 s[0:1], vcc, s[0:1]
	s_orn2_b64 s[0:1], s[0:1], exec
; %bb.8:
	s_or_b64 exec, exec, s[2:3]
	s_and_saveexec_b64 s[2:3], s[0:1]
	s_cbranch_execz .LBB6_31
; %bb.9:
	s_load_dword s0, s[4:5], 0x88
	s_load_dwordx4 s[20:23], s[4:5], 0x0
	s_add_u32 s1, s4, 0x88
	s_addc_u32 s3, s5, 0
	v_mov_b32_e32 v1, 0
	s_waitcnt lgkmcnt(0)
	s_cmp_lt_u32 s6, s0
	s_cselect_b32 s2, 12, 18
	s_add_u32 s2, s1, s2
	s_addc_u32 s3, s3, 0
	global_load_ushort v8, v1, s[2:3]
	s_waitcnt vmcnt(0)
	v_mul_lo_u32 v6, s6, v8
	v_add_u32_e32 v7, v6, v0
	v_lshrrev_b32_e32 v6, 4, v7
	v_cmp_gt_i32_e32 vcc, s21, v6
	s_and_b64 exec, exec, vcc
	s_cbranch_execz .LBB6_31
; %bb.10:
	v_and_b32_e32 v24, 7, v7
	v_mul_lo_u32 v8, s0, v8
	s_load_dwordx4 s[24:27], s[4:5], 0x60
	s_load_dwordx2 s[0:1], s[4:5], 0x48
	v_lshl_or_b32 v14, s7, 3, v24
	v_ashrrev_i32_e32 v15, 31, v14
	v_lshrrev_b32_e32 v25, 4, v8
	v_lshlrev_b64 v[8:9], 3, v[14:15]
	s_waitcnt lgkmcnt(0)
	v_mov_b32_e32 v16, s25
	v_add_co_u32_e32 v12, vcc, s24, v8
	s_load_dwordx8 s[8:15], s[4:5], 0x28
	v_addc_co_u32_e32 v17, vcc, v16, v9, vcc
	v_mul_lo_u32 v11, v15, s0
	v_mul_lo_u32 v18, v14, s1
	v_mad_u64_u32 v[8:9], s[0:1], v14, s0, 0
	v_lshrrev_b32_e32 v0, 3, v0
	v_add3_u32 v9, v9, v18, v11
	v_mov_b32_e32 v11, 0x600
	v_lshl_or_b32 v26, v0, 5, v11
	v_and_b32_e32 v11, 0x7fffffff, v4
	v_cmp_ne_u32_e32 vcc, 0, v11
	v_cmp_neq_f32_e64 s[0:1], 0, v5
	v_mul_u32_u24_e32 v11, 3, v24
	s_or_b64 s[2:3], vcc, s[0:1]
	v_lshlrev_b32_e32 v11, 3, v11
	s_movk_i32 s0, 0xc0
	v_lshlrev_b64 v[8:9], 3, v[8:9]
	v_lshrrev_b32_e32 v10, 3, v7
	v_mad_u32_u24 v28, v0, s0, v11
	v_mul_u32_u24_e32 v29, 0xc0, v0
	s_waitcnt lgkmcnt(0)
	v_mov_b32_e32 v0, s15
	v_add_co_u32_e32 v30, vcc, s14, v8
	v_addc_co_u32_e32 v31, vcc, v0, v9, vcc
	v_mad_u64_u32 v[8:9], s[6:7], v10, s26, 0
	v_mov_b32_e32 v0, v9
	v_mad_u64_u32 v[10:11], s[6:7], v10, s27, v[0:1]
	v_mov_b32_e32 v9, v10
	v_cmp_gt_i32_e64 s[0:1], s22, v14
	v_lshlrev_b64 v[8:9], 3, v[8:9]
	v_mul_lo_u32 v0, v15, s26
	v_mul_lo_u32 v11, v14, s27
	v_mad_u64_u32 v[14:15], s[6:7], v14, s26, 0
	v_add_co_u32_e32 v8, vcc, v12, v8
	v_add3_u32 v15, v15, v11, v0
	s_cmp_lg_u32 s16, 1
	v_addc_co_u32_e32 v9, vcc, v17, v9, vcc
	v_lshlrev_b64 v[14:15], 3, v[14:15]
	s_cselect_b64 s[4:5], -1, 0
	s_cmp_eq_u32 s20, 0
	v_add_co_u32_e32 v0, vcc, s24, v14
	v_bfe_u32 v13, v7, 3, 1
	v_addc_co_u32_e32 v11, vcc, v16, v15, vcc
	v_and_b32_e32 v7, -8, v7
	s_cselect_b64 s[6:7], -1, 0
	v_add_co_u32_e32 v14, vcc, v0, v7
	v_cndmask_b32_e64 v0, 0, 1, s[6:7]
	s_and_b64 s[6:7], s[6:7], exec
	v_lshl_or_b32 v27, v24, 2, v26
	v_xor_b32_e32 v10, 0x80000000, v3
	v_xor_b32_e32 v12, 0x80000000, v5
	v_addc_co_u32_e32 v15, vcc, 0, v11, vcc
	s_cselect_b32 s16, 1, 2
	v_lshlrev_b32_e32 v32, v0, v13
	v_mov_b32_e32 v11, v2
	v_mov_b32_e32 v13, v4
	v_subrev_u32_e32 v33, s17, v24
	s_mov_b64 s[6:7], 0
	v_mov_b32_e32 v34, s9
	s_branch .LBB6_12
.LBB6_11:                               ;   in Loop: Header=BB6_12 Depth=1
	s_or_b64 exec, exec, s[14:15]
	v_add_u32_e32 v6, v6, v25
	v_cmp_le_i32_e32 vcc, s21, v6
	s_or_b64 s[6:7], vcc, s[6:7]
	s_andn2_b64 exec, exec, s[6:7]
	s_cbranch_execz .LBB6_31
.LBB6_12:                               ; =>This Loop Header: Depth=1
                                        ;     Child Loop BB6_15 Depth 2
	v_mov_b32_e32 v7, v1
	v_lshlrev_b64 v[16:17], 2, v[6:7]
	v_add_co_u32_e32 v16, vcc, s8, v16
	v_addc_co_u32_e32 v17, vcc, v34, v17, vcc
	global_load_dwordx2 v[18:19], v[16:17], off
	v_mov_b32_e32 v17, 0
	v_mov_b32_e32 v16, v17
	s_waitcnt vmcnt(0)
	v_cmp_lt_i32_e32 vcc, v18, v19
	s_and_saveexec_b64 s[14:15], vcc
	s_cbranch_execz .LBB6_20
; %bb.13:                               ;   in Loop: Header=BB6_12 Depth=1
	v_add_u32_e32 v0, v33, v18
	v_mov_b32_e32 v16, 0
	v_subrev_u32_e32 v7, s17, v19
	v_subrev_u32_e32 v35, s17, v18
	v_lshl_or_b32 v0, v0, 2, v32
	s_mov_b64 s[18:19], 0
	v_mov_b32_e32 v17, v16
	s_branch .LBB6_15
.LBB6_14:                               ;   in Loop: Header=BB6_15 Depth=2
	s_or_b64 exec, exec, s[22:23]
	v_add_u32_e32 v35, 8, v35
	v_cmp_ge_i32_e32 vcc, v35, v7
	s_or_b64 s[18:19], vcc, s[18:19]
	v_add_u32_e32 v0, 32, v0
	s_andn2_b64 exec, exec, s[18:19]
	s_cbranch_execz .LBB6_19
.LBB6_15:                               ;   Parent Loop BB6_12 Depth=1
                                        ; =>  This Inner Loop Header: Depth=2
	v_add_u32_e32 v22, v24, v35
	v_cmp_lt_i32_e32 vcc, v22, v7
	v_mov_b32_e32 v23, 0
	v_mov_b32_e32 v18, 0
	;; [unrolled: 1-line block ×5, first 2 shown]
	s_and_saveexec_b64 s[22:23], vcc
	s_cbranch_execz .LBB6_17
; %bb.16:                               ;   in Loop: Header=BB6_15 Depth=2
	v_ashrrev_i32_e32 v23, 31, v22
	v_lshlrev_b64 v[18:19], 2, v[22:23]
	v_mov_b32_e32 v20, s11
	v_add_co_u32_e32 v18, vcc, s10, v18
	v_addc_co_u32_e32 v19, vcc, v20, v19, vcc
	global_load_dword v38, v[18:19], off
	v_lshlrev_b64 v[18:19], 3, v[0:1]
	v_mov_b32_e32 v20, s13
	v_add_co_u32_e32 v22, vcc, s12, v18
	v_addc_co_u32_e32 v23, vcc, v20, v19, vcc
	v_add_u32_e32 v18, s16, v0
	v_mov_b32_e32 v19, v1
	v_lshlrev_b64 v[18:19], 3, v[18:19]
	v_add_co_u32_e32 v36, vcc, s12, v18
	v_addc_co_u32_e32 v37, vcc, v20, v19, vcc
	global_load_dwordx2 v[18:19], v[22:23], off
	global_load_dwordx2 v[20:21], v[36:37], off
	s_waitcnt vmcnt(2)
	v_subrev_u32_e32 v22, s17, v38
	v_lshlrev_b32_e32 v23, 1, v22
.LBB6_17:                               ;   in Loop: Header=BB6_15 Depth=2
	s_or_b64 exec, exec, s[22:23]
	ds_write_b32 v27, v23
	s_waitcnt vmcnt(0)
	ds_write2_b64 v28, v[18:19], v[20:21] offset1:1
	s_waitcnt lgkmcnt(0)
	; wave barrier
	s_waitcnt lgkmcnt(0)
	s_and_saveexec_b64 s[22:23], s[0:1]
	s_cbranch_execz .LBB6_14
; %bb.18:                               ;   in Loop: Header=BB6_15 Depth=2
	ds_read_b128 v[18:21], v26
	ds_read_b128 v[36:39], v26 offset:16
	s_waitcnt lgkmcnt(1)
	v_ashrrev_i32_e32 v23, 31, v18
	v_mov_b32_e32 v22, v18
	v_lshlrev_b64 v[22:23], 3, v[22:23]
	v_add_co_u32_e32 v22, vcc, v30, v22
	v_ashrrev_i32_e32 v41, 31, v19
	v_mov_b32_e32 v40, v19
	v_addc_co_u32_e32 v23, vcc, v31, v23, vcc
	v_lshlrev_b64 v[18:19], 3, v[40:41]
	v_add_co_u32_e32 v18, vcc, v30, v18
	v_addc_co_u32_e32 v19, vcc, v31, v19, vcc
	global_load_dwordx4 v[40:43], v[22:23], off
	global_load_dwordx4 v[44:47], v[18:19], off
	v_ashrrev_i32_e32 v19, 31, v20
	v_mov_b32_e32 v18, v20
	v_lshlrev_b64 v[18:19], 3, v[18:19]
	v_add_co_u32_e32 v22, vcc, v30, v18
	v_addc_co_u32_e32 v23, vcc, v31, v19, vcc
	v_ashrrev_i32_e32 v19, 31, v21
	v_mov_b32_e32 v18, v21
	v_lshlrev_b64 v[18:19], 3, v[18:19]
	v_add_co_u32_e32 v52, vcc, v30, v18
	v_addc_co_u32_e32 v53, vcc, v31, v19, vcc
	global_load_dwordx4 v[18:21], v[22:23], off
	global_load_dwordx4 v[48:51], v[52:53], off
	s_waitcnt lgkmcnt(0)
	v_ashrrev_i32_e32 v23, 31, v36
	v_mov_b32_e32 v22, v36
	v_lshlrev_b64 v[22:23], 3, v[22:23]
	v_add_co_u32_e32 v22, vcc, v30, v22
	v_addc_co_u32_e32 v23, vcc, v31, v23, vcc
	global_load_dwordx4 v[52:55], v[22:23], off
	v_ashrrev_i32_e32 v23, 31, v37
	v_mov_b32_e32 v22, v37
	v_lshlrev_b64 v[22:23], 3, v[22:23]
	v_add_co_u32_e32 v22, vcc, v30, v22
	v_addc_co_u32_e32 v23, vcc, v31, v23, vcc
	global_load_dwordx4 v[56:59], v[22:23], off
	;; [unrolled: 6-line block ×4, first 2 shown]
	ds_read_b128 v[64:67], v29
	ds_read2_b64 v[68:71], v29 offset0:3 offset1:4
	ds_read_b128 v[72:75], v29 offset:48
	ds_read2_b64 v[76:79], v29 offset0:9 offset1:10
	ds_read_b128 v[80:83], v29 offset:96
	ds_read2_b64 v[84:87], v29 offset0:15 offset1:16
	s_waitcnt lgkmcnt(5)
	v_xor_b32_e32 v22, 0x80000000, v67
	v_mov_b32_e32 v23, v66
	s_waitcnt lgkmcnt(4)
	v_xor_b32_e32 v88, 0x80000000, v71
	v_mov_b32_e32 v89, v70
	;; [unrolled: 3-line block ×6, first 2 shown]
	s_waitcnt vmcnt(7)
	v_pk_fma_f32 v[16:17], v[64:65], v[40:41], v[16:17] op_sel_hi:[1,0,1]
	v_pk_fma_f32 v[16:17], v[64:65], v[40:41], v[16:17] op_sel:[1,1,0] op_sel_hi:[0,1,1] neg_lo:[1,0,0]
	v_mov_b32_e32 v98, v43
	v_pk_fma_f32 v[16:17], v[66:67], v[42:43], v[16:17] op_sel_hi:[1,0,1]
	v_pk_fma_f32 v[16:17], v[22:23], v[98:99], v[16:17] op_sel_hi:[1,0,1]
	s_waitcnt vmcnt(6)
	v_pk_fma_f32 v[16:17], v[68:69], v[44:45], v[16:17] op_sel_hi:[1,0,1]
	v_pk_fma_f32 v[16:17], v[68:69], v[44:45], v[16:17] op_sel:[1,1,0] op_sel_hi:[0,1,1] neg_lo:[1,0,0]
	v_mov_b32_e32 v100, v47
	v_pk_fma_f32 v[16:17], v[70:71], v[46:47], v[16:17] op_sel_hi:[1,0,1]
	v_pk_fma_f32 v[16:17], v[88:89], v[100:101], v[16:17] op_sel_hi:[1,0,1]
	;; [unrolled: 6-line block ×5, first 2 shown]
	s_waitcnt vmcnt(2)
	v_pk_fma_f32 v[16:17], v[84:85], v[56:57], v[16:17] op_sel_hi:[1,0,1]
	v_pk_fma_f32 v[16:17], v[84:85], v[56:57], v[16:17] op_sel:[1,1,0] op_sel_hi:[0,1,1] neg_lo:[1,0,0]
	v_pk_fma_f32 v[20:21], v[86:87], v[58:59], v[16:17] op_sel_hi:[1,0,1]
	ds_read_b128 v[16:19], v29 offset:144
	v_mov_b32_e32 v22, v59
	v_pk_fma_f32 v[40:41], v[96:97], v[22:23], v[20:21] op_sel_hi:[1,0,1]
	ds_read2_b64 v[20:23], v29 offset0:21 offset1:22
	s_waitcnt vmcnt(1) lgkmcnt(1)
	v_pk_fma_f32 v[40:41], v[16:17], v[60:61], v[40:41] op_sel_hi:[1,0,1]
	v_pk_fma_f32 v[16:17], v[16:17], v[60:61], v[40:41] op_sel:[1,1,0] op_sel_hi:[0,1,1] neg_lo:[1,0,0]
	v_xor_b32_e32 v40, 0x80000000, v19
	v_pk_fma_f32 v[16:17], v[18:19], v[62:63], v[16:17] op_sel_hi:[1,0,1]
	v_mov_b32_e32 v41, v18
	v_mov_b32_e32 v18, v63
	v_pk_fma_f32 v[16:17], v[40:41], v[18:19], v[16:17] op_sel_hi:[1,0,1]
	s_waitcnt lgkmcnt(0)
	v_xor_b32_e32 v18, 0x80000000, v23
	s_waitcnt vmcnt(0)
	v_pk_fma_f32 v[16:17], v[20:21], v[36:37], v[16:17] op_sel_hi:[1,0,1]
	v_pk_fma_f32 v[16:17], v[20:21], v[36:37], v[16:17] op_sel:[1,1,0] op_sel_hi:[0,1,1] neg_lo:[1,0,0]
	v_pk_fma_f32 v[16:17], v[22:23], v[38:39], v[16:17] op_sel_hi:[1,0,1]
	v_mov_b32_e32 v19, v22
	v_mov_b32_e32 v20, v39
	v_pk_fma_f32 v[16:17], v[18:19], v[20:21], v[16:17] op_sel_hi:[1,0,1]
	s_branch .LBB6_14
.LBB6_19:                               ;   in Loop: Header=BB6_12 Depth=1
	s_or_b64 exec, exec, s[18:19]
.LBB6_20:                               ;   in Loop: Header=BB6_12 Depth=1
	s_or_b64 exec, exec, s[14:15]
	s_and_saveexec_b64 s[14:15], s[0:1]
	s_cbranch_execz .LBB6_11
; %bb.21:                               ;   in Loop: Header=BB6_12 Depth=1
	v_mov_b32_e32 v0, v17
	v_pk_mul_f32 v[18:19], v[0:1], v[10:11] op_sel_hi:[0,1]
	v_pk_fma_f32 v[16:17], v[2:3], v[16:17], v[18:19] op_sel_hi:[1,0,1]
	s_and_saveexec_b64 s[18:19], s[2:3]
	s_xor_b64 s[18:19], exec, s[18:19]
	s_cbranch_execz .LBB6_26
; %bb.22:                               ;   in Loop: Header=BB6_12 Depth=1
	s_mov_b64 s[22:23], -1
	s_and_b64 vcc, exec, s[4:5]
	s_cbranch_vccz .LBB6_24
; %bb.23:                               ;   in Loop: Header=BB6_12 Depth=1
	global_load_dwordx2 v[18:19], v[8:9], off
	s_mov_b64 s[22:23], 0
	s_waitcnt vmcnt(0)
	v_pk_fma_f32 v[20:21], v[4:5], v[18:19], v[16:17] op_sel_hi:[1,0,1]
	v_pk_fma_f32 v[18:19], v[12:13], v[18:19], v[20:21] op_sel:[0,1,0]
	global_store_dwordx2 v[8:9], v[18:19], off
.LBB6_24:                               ;   in Loop: Header=BB6_12 Depth=1
	s_andn2_b64 vcc, exec, s[22:23]
	s_cbranch_vccnz .LBB6_26
; %bb.25:                               ;   in Loop: Header=BB6_12 Depth=1
	global_load_dwordx2 v[18:19], v[14:15], off
	s_waitcnt vmcnt(0)
	v_pk_fma_f32 v[16:17], v[4:5], v[18:19], v[16:17] op_sel_hi:[1,0,1]
	v_pk_fma_f32 v[16:17], v[12:13], v[18:19], v[16:17] op_sel:[0,1,0]
	global_store_dwordx2 v[14:15], v[16:17], off
                                        ; implicit-def: $vgpr16_vgpr17
.LBB6_26:                               ;   in Loop: Header=BB6_12 Depth=1
	s_andn2_saveexec_b64 s[18:19], s[18:19]
	s_cbranch_execz .LBB6_11
; %bb.27:                               ;   in Loop: Header=BB6_12 Depth=1
	s_mov_b64 s[18:19], -1
	s_and_b64 vcc, exec, s[4:5]
	s_cbranch_vccz .LBB6_29
; %bb.28:                               ;   in Loop: Header=BB6_12 Depth=1
	global_store_dwordx2 v[8:9], v[16:17], off
	s_mov_b64 s[18:19], 0
.LBB6_29:                               ;   in Loop: Header=BB6_12 Depth=1
	s_andn2_b64 vcc, exec, s[18:19]
	s_cbranch_vccnz .LBB6_11
; %bb.30:                               ;   in Loop: Header=BB6_12 Depth=1
	global_store_dwordx2 v[14:15], v[16:17], off
	s_branch .LBB6_11
.LBB6_31:
	s_endpgm
.LBB6_32:
	v_pk_mov_b32 v[4:5], s[8:9], s[8:9] op_sel:[0,1]
	flat_load_dword v3, v[4:5] offset:4
	s_and_b64 vcc, exec, s[0:1]
	v_mov_b32_e32 v4, s2
	s_cbranch_vccnz .LBB6_4
.LBB6_33:
	v_pk_mov_b32 v[4:5], s[2:3], s[2:3] op_sel:[0,1]
	flat_load_dword v4, v[4:5]
	s_and_b64 vcc, exec, s[0:1]
	v_mov_b32_e32 v5, s3
	s_cbranch_vccz .LBB6_5
	s_branch .LBB6_6
	.section	.rodata,"a",@progbits
	.p2align	6, 0x0
	.amdhsa_kernel _ZN9rocsparseL29bsrmmnn_small_blockdim_kernelILj64ELj8ELj2Eii21rocsparse_complex_numIfES2_S2_S2_EEv20rocsparse_direction_T3_S4_llNS_24const_host_device_scalarIT7_EEPKT2_PKS4_PKT4_PKT5_llS7_PT6_ll16rocsparse_order_21rocsparse_index_base_b
		.amdhsa_group_segment_fixed_size 1792
		.amdhsa_private_segment_fixed_size 0
		.amdhsa_kernarg_size 392
		.amdhsa_user_sgpr_count 6
		.amdhsa_user_sgpr_private_segment_buffer 1
		.amdhsa_user_sgpr_dispatch_ptr 0
		.amdhsa_user_sgpr_queue_ptr 0
		.amdhsa_user_sgpr_kernarg_segment_ptr 1
		.amdhsa_user_sgpr_dispatch_id 0
		.amdhsa_user_sgpr_flat_scratch_init 0
		.amdhsa_user_sgpr_kernarg_preload_length 0
		.amdhsa_user_sgpr_kernarg_preload_offset 0
		.amdhsa_user_sgpr_private_segment_size 0
		.amdhsa_uses_dynamic_stack 0
		.amdhsa_system_sgpr_private_segment_wavefront_offset 0
		.amdhsa_system_sgpr_workgroup_id_x 1
		.amdhsa_system_sgpr_workgroup_id_y 1
		.amdhsa_system_sgpr_workgroup_id_z 0
		.amdhsa_system_sgpr_workgroup_info 0
		.amdhsa_system_vgpr_workitem_id 0
		.amdhsa_next_free_vgpr 108
		.amdhsa_next_free_sgpr 28
		.amdhsa_accum_offset 108
		.amdhsa_reserve_vcc 1
		.amdhsa_reserve_flat_scratch 0
		.amdhsa_float_round_mode_32 0
		.amdhsa_float_round_mode_16_64 0
		.amdhsa_float_denorm_mode_32 3
		.amdhsa_float_denorm_mode_16_64 3
		.amdhsa_dx10_clamp 1
		.amdhsa_ieee_mode 1
		.amdhsa_fp16_overflow 0
		.amdhsa_tg_split 0
		.amdhsa_exception_fp_ieee_invalid_op 0
		.amdhsa_exception_fp_denorm_src 0
		.amdhsa_exception_fp_ieee_div_zero 0
		.amdhsa_exception_fp_ieee_overflow 0
		.amdhsa_exception_fp_ieee_underflow 0
		.amdhsa_exception_fp_ieee_inexact 0
		.amdhsa_exception_int_div_zero 0
	.end_amdhsa_kernel
	.section	.text._ZN9rocsparseL29bsrmmnn_small_blockdim_kernelILj64ELj8ELj2Eii21rocsparse_complex_numIfES2_S2_S2_EEv20rocsparse_direction_T3_S4_llNS_24const_host_device_scalarIT7_EEPKT2_PKS4_PKT4_PKT5_llS7_PT6_ll16rocsparse_order_21rocsparse_index_base_b,"axG",@progbits,_ZN9rocsparseL29bsrmmnn_small_blockdim_kernelILj64ELj8ELj2Eii21rocsparse_complex_numIfES2_S2_S2_EEv20rocsparse_direction_T3_S4_llNS_24const_host_device_scalarIT7_EEPKT2_PKS4_PKT4_PKT5_llS7_PT6_ll16rocsparse_order_21rocsparse_index_base_b,comdat
.Lfunc_end6:
	.size	_ZN9rocsparseL29bsrmmnn_small_blockdim_kernelILj64ELj8ELj2Eii21rocsparse_complex_numIfES2_S2_S2_EEv20rocsparse_direction_T3_S4_llNS_24const_host_device_scalarIT7_EEPKT2_PKS4_PKT4_PKT5_llS7_PT6_ll16rocsparse_order_21rocsparse_index_base_b, .Lfunc_end6-_ZN9rocsparseL29bsrmmnn_small_blockdim_kernelILj64ELj8ELj2Eii21rocsparse_complex_numIfES2_S2_S2_EEv20rocsparse_direction_T3_S4_llNS_24const_host_device_scalarIT7_EEPKT2_PKS4_PKT4_PKT5_llS7_PT6_ll16rocsparse_order_21rocsparse_index_base_b
                                        ; -- End function
	.section	.AMDGPU.csdata,"",@progbits
; Kernel info:
; codeLenInByte = 2084
; NumSgprs: 32
; NumVgprs: 108
; NumAgprs: 0
; TotalNumVgprs: 108
; ScratchSize: 0
; MemoryBound: 0
; FloatMode: 240
; IeeeMode: 1
; LDSByteSize: 1792 bytes/workgroup (compile time only)
; SGPRBlocks: 3
; VGPRBlocks: 13
; NumSGPRsForWavesPerEU: 32
; NumVGPRsForWavesPerEU: 108
; AccumOffset: 108
; Occupancy: 4
; WaveLimiterHint : 1
; COMPUTE_PGM_RSRC2:SCRATCH_EN: 0
; COMPUTE_PGM_RSRC2:USER_SGPR: 6
; COMPUTE_PGM_RSRC2:TRAP_HANDLER: 0
; COMPUTE_PGM_RSRC2:TGID_X_EN: 1
; COMPUTE_PGM_RSRC2:TGID_Y_EN: 1
; COMPUTE_PGM_RSRC2:TGID_Z_EN: 0
; COMPUTE_PGM_RSRC2:TIDIG_COMP_CNT: 0
; COMPUTE_PGM_RSRC3_GFX90A:ACCUM_OFFSET: 26
; COMPUTE_PGM_RSRC3_GFX90A:TG_SPLIT: 0
	.section	.text._ZN9rocsparseL29bsrmmnn_small_blockdim_kernelILj64ELj8ELj2Eli21rocsparse_complex_numIfES2_S2_S2_EEv20rocsparse_direction_T3_S4_llNS_24const_host_device_scalarIT7_EEPKT2_PKS4_PKT4_PKT5_llS7_PT6_ll16rocsparse_order_21rocsparse_index_base_b,"axG",@progbits,_ZN9rocsparseL29bsrmmnn_small_blockdim_kernelILj64ELj8ELj2Eli21rocsparse_complex_numIfES2_S2_S2_EEv20rocsparse_direction_T3_S4_llNS_24const_host_device_scalarIT7_EEPKT2_PKS4_PKT4_PKT5_llS7_PT6_ll16rocsparse_order_21rocsparse_index_base_b,comdat
	.globl	_ZN9rocsparseL29bsrmmnn_small_blockdim_kernelILj64ELj8ELj2Eli21rocsparse_complex_numIfES2_S2_S2_EEv20rocsparse_direction_T3_S4_llNS_24const_host_device_scalarIT7_EEPKT2_PKS4_PKT4_PKT5_llS7_PT6_ll16rocsparse_order_21rocsparse_index_base_b ; -- Begin function _ZN9rocsparseL29bsrmmnn_small_blockdim_kernelILj64ELj8ELj2Eli21rocsparse_complex_numIfES2_S2_S2_EEv20rocsparse_direction_T3_S4_llNS_24const_host_device_scalarIT7_EEPKT2_PKS4_PKT4_PKT5_llS7_PT6_ll16rocsparse_order_21rocsparse_index_base_b
	.p2align	8
	.type	_ZN9rocsparseL29bsrmmnn_small_blockdim_kernelILj64ELj8ELj2Eli21rocsparse_complex_numIfES2_S2_S2_EEv20rocsparse_direction_T3_S4_llNS_24const_host_device_scalarIT7_EEPKT2_PKS4_PKT4_PKT5_llS7_PT6_ll16rocsparse_order_21rocsparse_index_base_b,@function
_ZN9rocsparseL29bsrmmnn_small_blockdim_kernelILj64ELj8ELj2Eli21rocsparse_complex_numIfES2_S2_S2_EEv20rocsparse_direction_T3_S4_llNS_24const_host_device_scalarIT7_EEPKT2_PKS4_PKT4_PKT5_llS7_PT6_ll16rocsparse_order_21rocsparse_index_base_b: ; @_ZN9rocsparseL29bsrmmnn_small_blockdim_kernelILj64ELj8ELj2Eli21rocsparse_complex_numIfES2_S2_S2_EEv20rocsparse_direction_T3_S4_llNS_24const_host_device_scalarIT7_EEPKT2_PKS4_PKT4_PKT5_llS7_PT6_ll16rocsparse_order_21rocsparse_index_base_b
; %bb.0:
	s_load_dwordx4 s[16:19], s[4:5], 0x78
	s_load_dwordx2 s[8:9], s[4:5], 0x20
	s_load_dwordx2 s[2:3], s[4:5], 0x58
	s_waitcnt lgkmcnt(0)
	s_bitcmp1_b32 s18, 0
	s_cselect_b64 s[0:1], -1, 0
	s_xor_b64 s[10:11], s[0:1], -1
	s_and_b64 vcc, exec, s[0:1]
	v_mov_b32_e32 v4, s8
	s_cbranch_vccnz .LBB7_2
; %bb.1:
	v_pk_mov_b32 v[2:3], s[8:9], s[8:9] op_sel:[0,1]
	flat_load_dword v4, v[2:3]
.LBB7_2:
	v_cndmask_b32_e64 v1, 0, 1, s[10:11]
	v_cmp_ne_u32_e64 s[0:1], 1, v1
	s_andn2_b64 vcc, exec, s[10:11]
	v_mov_b32_e32 v5, s9
	s_cbranch_vccz .LBB7_32
; %bb.3:
	s_and_b64 vcc, exec, s[0:1]
	v_mov_b32_e32 v6, s2
	s_cbranch_vccz .LBB7_33
.LBB7_4:
	s_and_b64 vcc, exec, s[0:1]
	v_mov_b32_e32 v7, s3
	s_cbranch_vccnz .LBB7_6
.LBB7_5:
	v_pk_mov_b32 v[2:3], s[2:3], s[2:3] op_sel:[0,1]
	flat_load_dword v7, v[2:3] offset:4
.LBB7_6:
	s_waitcnt vmcnt(0) lgkmcnt(0)
	v_and_b32_e32 v1, 0x7fffffff, v4
	v_cmp_eq_u32_e32 vcc, 0, v1
	v_cmp_eq_f32_e64 s[0:1], 0, v5
	s_and_b64 s[8:9], vcc, s[0:1]
	s_mov_b64 s[0:1], -1
	s_and_saveexec_b64 s[2:3], s[8:9]
; %bb.7:
	v_and_b32_e32 v1, 0x7fffffff, v7
	v_cmp_neq_f32_e32 vcc, 1.0, v6
	v_cmp_ne_u32_e64 s[0:1], 0, v1
	s_or_b64 s[0:1], vcc, s[0:1]
	s_orn2_b64 s[0:1], s[0:1], exec
; %bb.8:
	s_or_b64 exec, exec, s[2:3]
	s_and_saveexec_b64 s[2:3], s[0:1]
	s_cbranch_execz .LBB7_31
; %bb.9:
	s_load_dword s0, s[4:5], 0x88
	s_load_dwordx4 s[20:23], s[4:5], 0x0
	s_add_u32 s1, s4, 0x88
	s_addc_u32 s3, s5, 0
	v_mov_b32_e32 v9, 0
	s_waitcnt lgkmcnt(0)
	s_cmp_lt_u32 s6, s0
	s_cselect_b32 s2, 12, 18
	s_add_u32 s2, s1, s2
	s_addc_u32 s3, s3, 0
	global_load_ushort v2, v9, s[2:3]
	s_mov_b32 s28, 0
	s_waitcnt vmcnt(0)
	v_mul_lo_u32 v1, s6, v2
	v_add_u32_e32 v1, v1, v0
	v_lshrrev_b32_e32 v8, 4, v1
	v_cmp_gt_i32_e32 vcc, s21, v8
	s_and_b64 exec, exec, vcc
	s_cbranch_execz .LBB7_31
; %bb.10:
	v_mul_lo_u32 v2, s0, v2
	s_load_dwordx4 s[24:27], s[4:5], 0x60
	s_load_dwordx2 s[0:1], s[4:5], 0x48
	v_and_b32_e32 v10, 7, v1
	v_lshrrev_b32_e32 v11, 4, v2
	v_lshl_or_b32 v2, s7, 3, v10
	v_ashrrev_i32_e32 v3, 31, v2
	v_lshlrev_b64 v[12:13], 3, v[2:3]
	s_waitcnt lgkmcnt(0)
	v_mov_b32_e32 v17, s25
	v_add_co_u32_e32 v16, vcc, s24, v12
	s_load_dwordx8 s[8:15], s[4:5], 0x28
	v_addc_co_u32_e32 v18, vcc, v17, v13, vcc
	v_mul_lo_u32 v15, v3, s0
	v_mul_lo_u32 v19, v2, s1
	v_mad_u64_u32 v[12:13], s[0:1], v2, s0, 0
	v_lshrrev_b32_e32 v0, 3, v0
	v_add3_u32 v13, v13, v19, v15
	v_mov_b32_e32 v15, 0x600
	v_lshl_or_b32 v32, v0, 5, v15
	v_and_b32_e32 v15, 0x7fffffff, v6
	v_cmp_ne_u32_e32 vcc, 0, v15
	v_cmp_neq_f32_e64 s[0:1], 0, v7
	v_mul_u32_u24_e32 v15, 3, v10
	s_or_b64 s[4:5], vcc, s[0:1]
	v_lshlrev_b32_e32 v15, 3, v15
	s_movk_i32 s0, 0xc0
	v_lshlrev_b64 v[12:13], 3, v[12:13]
	v_lshrrev_b32_e32 v14, 3, v1
	v_mad_u32_u24 v34, v0, s0, v15
	v_mul_u32_u24_e32 v35, 0xc0, v0
	s_waitcnt lgkmcnt(0)
	v_mov_b32_e32 v0, s15
	v_add_co_u32_e32 v36, vcc, s14, v12
	v_addc_co_u32_e32 v37, vcc, v0, v13, vcc
	v_mad_u64_u32 v[12:13], s[2:3], v14, s26, 0
	v_mov_b32_e32 v0, v13
	v_mad_u64_u32 v[14:15], s[2:3], v14, s27, v[0:1]
	v_mov_b32_e32 v13, v14
	v_cmp_gt_i32_e64 s[0:1], s22, v2
	v_lshlrev_b64 v[12:13], 3, v[12:13]
	v_mul_lo_u32 v0, v3, s26
	v_mul_lo_u32 v15, v2, s27
	v_mad_u64_u32 v[2:3], s[2:3], v2, s26, 0
	v_add_co_u32_e32 v12, vcc, v16, v12
	v_add3_u32 v3, v3, v15, v0
	s_cmp_lg_u32 s16, 1
	v_addc_co_u32_e32 v13, vcc, v18, v13, vcc
	v_lshlrev_b64 v[2:3], 3, v[2:3]
	s_cselect_b64 s[6:7], -1, 0
	s_cmp_eq_u32 s20, 0
	v_add_co_u32_e32 v0, vcc, s24, v2
	v_bfe_u32 v20, v1, 3, 1
	v_addc_co_u32_e32 v2, vcc, v17, v3, vcc
	v_and_b32_e32 v1, -8, v1
	s_cselect_b64 s[2:3], -1, 0
	v_add_co_u32_e32 v18, vcc, v0, v1
	v_cndmask_b32_e64 v0, 0, 1, s[2:3]
	v_addc_co_u32_e32 v19, vcc, 0, v2, vcc
	v_lshlrev_b32_e32 v0, v0, v20
	v_subrev_co_u32_e32 v38, vcc, s17, v10
	v_lshlrev_b32_e32 v1, 3, v0
	s_and_b64 s[2:3], s[2:3], exec
	v_subb_co_u32_e64 v39, s[2:3], 0, 0, vcc
	v_mov_b32_e32 v2, s13
	v_add_co_u32_e32 v40, vcc, s12, v1
	s_cselect_b32 s14, 1, 2
	v_addc_co_u32_e32 v41, vcc, 0, v2, vcc
	v_add_co_u32_e32 v42, vcc, s14, v0
	s_mov_b32 s25, s17
	v_lshl_or_b32 v33, v10, 2, v32
	v_xor_b32_e32 v14, 0x80000000, v5
	v_xor_b32_e32 v16, 0x80000000, v7
	v_mov_b32_e32 v15, v4
	v_mov_b32_e32 v17, v6
	v_addc_co_u32_e64 v43, s[2:3], 0, 0, vcc
	s_mov_b64 s[14:15], 0
	s_branch .LBB7_12
.LBB7_11:                               ;   in Loop: Header=BB7_12 Depth=1
	s_or_b64 exec, exec, s[2:3]
	v_add_u32_e32 v8, v8, v11
	v_cmp_le_i32_e32 vcc, s21, v8
	s_or_b64 s[14:15], vcc, s[14:15]
	s_andn2_b64 exec, exec, s[14:15]
	s_cbranch_execz .LBB7_31
.LBB7_12:                               ; =>This Loop Header: Depth=1
                                        ;     Child Loop BB7_15 Depth 2
	v_lshlrev_b64 v[0:1], 3, v[8:9]
	v_mov_b32_e32 v2, s9
	v_add_co_u32_e32 v0, vcc, s8, v0
	v_addc_co_u32_e32 v1, vcc, v2, v1, vcc
	global_load_dwordx4 v[0:3], v[0:1], off
	v_mov_b32_e32 v27, 0
	v_mov_b32_e32 v26, v27
	s_waitcnt vmcnt(0)
	v_cmp_lt_i64_e32 vcc, v[0:1], v[2:3]
	s_and_saveexec_b64 s[18:19], vcc
	s_cbranch_execz .LBB7_20
; %bb.13:                               ;   in Loop: Header=BB7_12 Depth=1
	v_mov_b32_e32 v21, s28
	v_subrev_co_u32_e32 v2, vcc, s25, v2
	v_subb_co_u32_e32 v3, vcc, v3, v21, vcc
	v_subrev_co_u32_e32 v20, vcc, s25, v0
	v_subb_co_u32_e32 v21, vcc, v1, v21, vcc
	v_add_co_u32_e32 v22, vcc, v38, v0
	v_addc_co_u32_e32 v23, vcc, v39, v1, vcc
	v_lshlrev_b64 v[24:25], 2, v[22:23]
	v_mov_b32_e32 v1, s11
	v_add_co_u32_e32 v0, vcc, s10, v24
	v_addc_co_u32_e32 v1, vcc, v1, v25, vcc
	v_lshlrev_b64 v[22:23], 5, v[22:23]
	v_add_co_u32_e32 v22, vcc, v40, v22
	v_addc_co_u32_e32 v23, vcc, v41, v23, vcc
	v_add_co_u32_e32 v24, vcc, v42, v24
	v_addc_co_u32_e32 v25, vcc, v43, v25, vcc
	v_lshlrev_b64 v[24:25], 3, v[24:25]
	v_mov_b32_e32 v26, s13
	v_add_co_u32_e32 v24, vcc, s12, v24
	v_addc_co_u32_e32 v25, vcc, v26, v25, vcc
	v_mov_b32_e32 v26, 0
	s_mov_b64 s[22:23], 0
	v_mov_b32_e32 v27, v26
	s_branch .LBB7_15
.LBB7_14:                               ;   in Loop: Header=BB7_15 Depth=2
	s_or_b64 exec, exec, s[2:3]
	v_add_co_u32_e32 v20, vcc, 8, v20
	v_addc_co_u32_e32 v21, vcc, 0, v21, vcc
	v_add_co_u32_e32 v0, vcc, 32, v0
	v_addc_co_u32_e32 v1, vcc, 0, v1, vcc
	;; [unrolled: 2-line block ×3, first 2 shown]
	v_add_co_u32_e32 v24, vcc, 0x100, v24
	v_cmp_ge_i64_e64 s[2:3], v[20:21], v[2:3]
	s_or_b64 s[22:23], s[2:3], s[22:23]
	v_addc_co_u32_e32 v25, vcc, 0, v25, vcc
	s_andn2_b64 exec, exec, s[22:23]
	s_cbranch_execz .LBB7_19
.LBB7_15:                               ;   Parent Loop BB7_12 Depth=1
                                        ; =>  This Inner Loop Header: Depth=2
	v_add_co_u32_e32 v28, vcc, v10, v20
	v_addc_co_u32_e32 v29, vcc, 0, v21, vcc
	v_cmp_lt_i64_e32 vcc, v[28:29], v[2:3]
	v_mov_b32_e32 v44, 0
	v_mov_b32_e32 v28, 0
	;; [unrolled: 1-line block ×5, first 2 shown]
	s_and_saveexec_b64 s[2:3], vcc
	s_cbranch_execz .LBB7_17
; %bb.16:                               ;   in Loop: Header=BB7_15 Depth=2
	global_load_dword v44, v[0:1], off
	global_load_dwordx2 v[28:29], v[22:23], off
	global_load_dwordx2 v[30:31], v[24:25], off
	s_waitcnt vmcnt(2)
	v_subrev_u32_e32 v44, s17, v44
	v_lshlrev_b32_e32 v44, 1, v44
.LBB7_17:                               ;   in Loop: Header=BB7_15 Depth=2
	s_or_b64 exec, exec, s[2:3]
	ds_write_b32 v33, v44
	s_waitcnt vmcnt(0)
	ds_write2_b64 v34, v[28:29], v[30:31] offset1:1
	s_waitcnt lgkmcnt(0)
	; wave barrier
	s_waitcnt lgkmcnt(0)
	s_and_saveexec_b64 s[2:3], s[0:1]
	s_cbranch_execz .LBB7_14
; %bb.18:                               ;   in Loop: Header=BB7_15 Depth=2
	ds_read_b128 v[28:31], v32
	ds_read_b128 v[44:47], v32 offset:16
	s_waitcnt lgkmcnt(1)
	v_ashrrev_i32_e32 v49, 31, v28
	v_mov_b32_e32 v48, v28
	v_lshlrev_b64 v[48:49], 3, v[48:49]
	v_add_co_u32_e32 v56, vcc, v36, v48
	v_addc_co_u32_e32 v57, vcc, v37, v49, vcc
	v_ashrrev_i32_e32 v49, 31, v29
	v_mov_b32_e32 v48, v29
	v_lshlrev_b64 v[28:29], 3, v[48:49]
	v_add_co_u32_e32 v28, vcc, v36, v28
	v_addc_co_u32_e32 v29, vcc, v37, v29, vcc
	global_load_dwordx4 v[48:51], v[56:57], off
	global_load_dwordx4 v[52:55], v[28:29], off
	v_ashrrev_i32_e32 v29, 31, v30
	v_mov_b32_e32 v28, v30
	v_lshlrev_b64 v[28:29], 3, v[28:29]
	v_add_co_u32_e32 v60, vcc, v36, v28
	v_addc_co_u32_e32 v61, vcc, v37, v29, vcc
	v_ashrrev_i32_e32 v29, 31, v31
	v_mov_b32_e32 v28, v31
	v_lshlrev_b64 v[28:29], 3, v[28:29]
	v_add_co_u32_e32 v62, vcc, v36, v28
	v_addc_co_u32_e32 v63, vcc, v37, v29, vcc
	global_load_dwordx4 v[28:31], v[60:61], off
	global_load_dwordx4 v[56:59], v[62:63], off
	s_waitcnt lgkmcnt(0)
	v_ashrrev_i32_e32 v61, 31, v44
	v_mov_b32_e32 v60, v44
	v_lshlrev_b64 v[60:61], 3, v[60:61]
	v_add_co_u32_e32 v60, vcc, v36, v60
	v_addc_co_u32_e32 v61, vcc, v37, v61, vcc
	global_load_dwordx4 v[60:63], v[60:61], off
	v_ashrrev_i32_e32 v65, 31, v45
	v_mov_b32_e32 v64, v45
	v_lshlrev_b64 v[44:45], 3, v[64:65]
	v_add_co_u32_e32 v44, vcc, v36, v44
	v_addc_co_u32_e32 v45, vcc, v37, v45, vcc
	global_load_dwordx4 v[64:67], v[44:45], off
	;; [unrolled: 6-line block ×4, first 2 shown]
	ds_read_b128 v[72:75], v35
	ds_read2_b64 v[76:79], v35 offset0:3 offset1:4
	ds_read_b128 v[80:83], v35 offset:48
	ds_read2_b64 v[84:87], v35 offset0:9 offset1:10
	ds_read_b128 v[88:91], v35 offset:96
	ds_read2_b64 v[92:95], v35 offset0:15 offset1:16
	s_waitcnt lgkmcnt(5)
	v_xor_b32_e32 v96, 0x80000000, v75
	v_mov_b32_e32 v97, v74
	s_waitcnt lgkmcnt(4)
	v_xor_b32_e32 v98, 0x80000000, v79
	v_mov_b32_e32 v99, v78
	s_waitcnt lgkmcnt(3)
	v_xor_b32_e32 v100, 0x80000000, v83
	v_mov_b32_e32 v101, v82
	s_waitcnt lgkmcnt(2)
	v_xor_b32_e32 v102, 0x80000000, v87
	v_mov_b32_e32 v103, v86
	s_waitcnt lgkmcnt(1)
	v_xor_b32_e32 v104, 0x80000000, v91
	v_mov_b32_e32 v105, v90
	s_waitcnt lgkmcnt(0)
	v_xor_b32_e32 v106, 0x80000000, v95
	v_mov_b32_e32 v107, v94
	s_waitcnt vmcnt(7)
	v_pk_fma_f32 v[26:27], v[72:73], v[48:49], v[26:27] op_sel_hi:[1,0,1]
	v_pk_fma_f32 v[26:27], v[72:73], v[48:49], v[26:27] op_sel:[1,1,0] op_sel_hi:[0,1,1] neg_lo:[1,0,0]
	v_mov_b32_e32 v108, v51
	v_pk_fma_f32 v[26:27], v[74:75], v[50:51], v[26:27] op_sel_hi:[1,0,1]
	v_pk_fma_f32 v[26:27], v[96:97], v[108:109], v[26:27] op_sel_hi:[1,0,1]
	s_waitcnt vmcnt(6)
	v_pk_fma_f32 v[26:27], v[76:77], v[52:53], v[26:27] op_sel_hi:[1,0,1]
	v_pk_fma_f32 v[26:27], v[76:77], v[52:53], v[26:27] op_sel:[1,1,0] op_sel_hi:[0,1,1] neg_lo:[1,0,0]
	v_mov_b32_e32 v110, v55
	v_pk_fma_f32 v[26:27], v[78:79], v[54:55], v[26:27] op_sel_hi:[1,0,1]
	v_pk_fma_f32 v[26:27], v[98:99], v[110:111], v[26:27] op_sel_hi:[1,0,1]
	;; [unrolled: 6-line block ×5, first 2 shown]
	s_waitcnt vmcnt(2)
	v_pk_fma_f32 v[26:27], v[92:93], v[64:65], v[26:27] op_sel_hi:[1,0,1]
	v_pk_fma_f32 v[26:27], v[92:93], v[64:65], v[26:27] op_sel:[1,1,0] op_sel_hi:[0,1,1] neg_lo:[1,0,0]
	v_pk_fma_f32 v[30:31], v[94:95], v[66:67], v[26:27] op_sel_hi:[1,0,1]
	ds_read_b128 v[26:29], v35 offset:144
	v_mov_b32_e32 v48, v67
	v_pk_fma_f32 v[30:31], v[106:107], v[48:49], v[30:31] op_sel_hi:[1,0,1]
	ds_read2_b64 v[48:51], v35 offset0:21 offset1:22
	s_waitcnt vmcnt(1) lgkmcnt(1)
	v_pk_fma_f32 v[30:31], v[26:27], v[68:69], v[30:31] op_sel_hi:[1,0,1]
	v_pk_fma_f32 v[26:27], v[26:27], v[68:69], v[30:31] op_sel:[1,1,0] op_sel_hi:[0,1,1] neg_lo:[1,0,0]
	v_xor_b32_e32 v30, 0x80000000, v29
	v_pk_fma_f32 v[26:27], v[28:29], v[70:71], v[26:27] op_sel_hi:[1,0,1]
	v_mov_b32_e32 v31, v28
	v_mov_b32_e32 v28, v71
	v_pk_fma_f32 v[26:27], v[30:31], v[28:29], v[26:27] op_sel_hi:[1,0,1]
	s_waitcnt lgkmcnt(0)
	v_xor_b32_e32 v28, 0x80000000, v51
	s_waitcnt vmcnt(0)
	v_pk_fma_f32 v[26:27], v[48:49], v[44:45], v[26:27] op_sel_hi:[1,0,1]
	v_pk_fma_f32 v[26:27], v[48:49], v[44:45], v[26:27] op_sel:[1,1,0] op_sel_hi:[0,1,1] neg_lo:[1,0,0]
	v_pk_fma_f32 v[26:27], v[50:51], v[46:47], v[26:27] op_sel_hi:[1,0,1]
	v_mov_b32_e32 v29, v50
	v_mov_b32_e32 v30, v47
	v_pk_fma_f32 v[26:27], v[28:29], v[30:31], v[26:27] op_sel_hi:[1,0,1]
	s_branch .LBB7_14
.LBB7_19:                               ;   in Loop: Header=BB7_12 Depth=1
	s_or_b64 exec, exec, s[22:23]
.LBB7_20:                               ;   in Loop: Header=BB7_12 Depth=1
	s_or_b64 exec, exec, s[18:19]
	s_and_saveexec_b64 s[2:3], s[0:1]
	s_cbranch_execz .LBB7_11
; %bb.21:                               ;   in Loop: Header=BB7_12 Depth=1
	v_mov_b32_e32 v0, v27
	v_pk_mul_f32 v[0:1], v[0:1], v[14:15] op_sel_hi:[0,1]
	v_pk_fma_f32 v[0:1], v[4:5], v[26:27], v[0:1] op_sel_hi:[1,0,1]
	s_and_saveexec_b64 s[18:19], s[4:5]
	s_xor_b64 s[18:19], exec, s[18:19]
	s_cbranch_execz .LBB7_26
; %bb.22:                               ;   in Loop: Header=BB7_12 Depth=1
	s_mov_b64 s[22:23], -1
	s_and_b64 vcc, exec, s[6:7]
	s_cbranch_vccz .LBB7_24
; %bb.23:                               ;   in Loop: Header=BB7_12 Depth=1
	global_load_dwordx2 v[2:3], v[12:13], off
	s_mov_b64 s[22:23], 0
	s_waitcnt vmcnt(0)
	v_pk_fma_f32 v[20:21], v[6:7], v[2:3], v[0:1] op_sel_hi:[1,0,1]
	v_pk_fma_f32 v[2:3], v[16:17], v[2:3], v[20:21] op_sel:[0,1,0]
	global_store_dwordx2 v[12:13], v[2:3], off
.LBB7_24:                               ;   in Loop: Header=BB7_12 Depth=1
	s_andn2_b64 vcc, exec, s[22:23]
	s_cbranch_vccnz .LBB7_26
; %bb.25:                               ;   in Loop: Header=BB7_12 Depth=1
	global_load_dwordx2 v[2:3], v[18:19], off
	s_waitcnt vmcnt(0)
	v_pk_fma_f32 v[0:1], v[6:7], v[2:3], v[0:1] op_sel_hi:[1,0,1]
	v_pk_fma_f32 v[0:1], v[16:17], v[2:3], v[0:1] op_sel:[0,1,0]
	global_store_dwordx2 v[18:19], v[0:1], off
                                        ; implicit-def: $vgpr0_vgpr1
.LBB7_26:                               ;   in Loop: Header=BB7_12 Depth=1
	s_andn2_saveexec_b64 s[18:19], s[18:19]
	s_cbranch_execz .LBB7_11
; %bb.27:                               ;   in Loop: Header=BB7_12 Depth=1
	s_mov_b64 s[18:19], -1
	s_and_b64 vcc, exec, s[6:7]
	s_cbranch_vccz .LBB7_29
; %bb.28:                               ;   in Loop: Header=BB7_12 Depth=1
	global_store_dwordx2 v[12:13], v[0:1], off
	s_mov_b64 s[18:19], 0
.LBB7_29:                               ;   in Loop: Header=BB7_12 Depth=1
	s_andn2_b64 vcc, exec, s[18:19]
	s_cbranch_vccnz .LBB7_11
; %bb.30:                               ;   in Loop: Header=BB7_12 Depth=1
	global_store_dwordx2 v[18:19], v[0:1], off
	s_branch .LBB7_11
.LBB7_31:
	s_endpgm
.LBB7_32:
	v_pk_mov_b32 v[2:3], s[8:9], s[8:9] op_sel:[0,1]
	flat_load_dword v5, v[2:3] offset:4
	s_and_b64 vcc, exec, s[0:1]
	v_mov_b32_e32 v6, s2
	s_cbranch_vccnz .LBB7_4
.LBB7_33:
	v_pk_mov_b32 v[2:3], s[2:3], s[2:3] op_sel:[0,1]
	flat_load_dword v6, v[2:3]
	s_and_b64 vcc, exec, s[0:1]
	v_mov_b32_e32 v7, s3
	s_cbranch_vccz .LBB7_5
	s_branch .LBB7_6
	.section	.rodata,"a",@progbits
	.p2align	6, 0x0
	.amdhsa_kernel _ZN9rocsparseL29bsrmmnn_small_blockdim_kernelILj64ELj8ELj2Eli21rocsparse_complex_numIfES2_S2_S2_EEv20rocsparse_direction_T3_S4_llNS_24const_host_device_scalarIT7_EEPKT2_PKS4_PKT4_PKT5_llS7_PT6_ll16rocsparse_order_21rocsparse_index_base_b
		.amdhsa_group_segment_fixed_size 1792
		.amdhsa_private_segment_fixed_size 0
		.amdhsa_kernarg_size 392
		.amdhsa_user_sgpr_count 6
		.amdhsa_user_sgpr_private_segment_buffer 1
		.amdhsa_user_sgpr_dispatch_ptr 0
		.amdhsa_user_sgpr_queue_ptr 0
		.amdhsa_user_sgpr_kernarg_segment_ptr 1
		.amdhsa_user_sgpr_dispatch_id 0
		.amdhsa_user_sgpr_flat_scratch_init 0
		.amdhsa_user_sgpr_kernarg_preload_length 0
		.amdhsa_user_sgpr_kernarg_preload_offset 0
		.amdhsa_user_sgpr_private_segment_size 0
		.amdhsa_uses_dynamic_stack 0
		.amdhsa_system_sgpr_private_segment_wavefront_offset 0
		.amdhsa_system_sgpr_workgroup_id_x 1
		.amdhsa_system_sgpr_workgroup_id_y 1
		.amdhsa_system_sgpr_workgroup_id_z 0
		.amdhsa_system_sgpr_workgroup_info 0
		.amdhsa_system_vgpr_workitem_id 0
		.amdhsa_next_free_vgpr 118
		.amdhsa_next_free_sgpr 29
		.amdhsa_accum_offset 120
		.amdhsa_reserve_vcc 1
		.amdhsa_reserve_flat_scratch 0
		.amdhsa_float_round_mode_32 0
		.amdhsa_float_round_mode_16_64 0
		.amdhsa_float_denorm_mode_32 3
		.amdhsa_float_denorm_mode_16_64 3
		.amdhsa_dx10_clamp 1
		.amdhsa_ieee_mode 1
		.amdhsa_fp16_overflow 0
		.amdhsa_tg_split 0
		.amdhsa_exception_fp_ieee_invalid_op 0
		.amdhsa_exception_fp_denorm_src 0
		.amdhsa_exception_fp_ieee_div_zero 0
		.amdhsa_exception_fp_ieee_overflow 0
		.amdhsa_exception_fp_ieee_underflow 0
		.amdhsa_exception_fp_ieee_inexact 0
		.amdhsa_exception_int_div_zero 0
	.end_amdhsa_kernel
	.section	.text._ZN9rocsparseL29bsrmmnn_small_blockdim_kernelILj64ELj8ELj2Eli21rocsparse_complex_numIfES2_S2_S2_EEv20rocsparse_direction_T3_S4_llNS_24const_host_device_scalarIT7_EEPKT2_PKS4_PKT4_PKT5_llS7_PT6_ll16rocsparse_order_21rocsparse_index_base_b,"axG",@progbits,_ZN9rocsparseL29bsrmmnn_small_blockdim_kernelILj64ELj8ELj2Eli21rocsparse_complex_numIfES2_S2_S2_EEv20rocsparse_direction_T3_S4_llNS_24const_host_device_scalarIT7_EEPKT2_PKS4_PKT4_PKT5_llS7_PT6_ll16rocsparse_order_21rocsparse_index_base_b,comdat
.Lfunc_end7:
	.size	_ZN9rocsparseL29bsrmmnn_small_blockdim_kernelILj64ELj8ELj2Eli21rocsparse_complex_numIfES2_S2_S2_EEv20rocsparse_direction_T3_S4_llNS_24const_host_device_scalarIT7_EEPKT2_PKS4_PKT4_PKT5_llS7_PT6_ll16rocsparse_order_21rocsparse_index_base_b, .Lfunc_end7-_ZN9rocsparseL29bsrmmnn_small_blockdim_kernelILj64ELj8ELj2Eli21rocsparse_complex_numIfES2_S2_S2_EEv20rocsparse_direction_T3_S4_llNS_24const_host_device_scalarIT7_EEPKT2_PKS4_PKT4_PKT5_llS7_PT6_ll16rocsparse_order_21rocsparse_index_base_b
                                        ; -- End function
	.section	.AMDGPU.csdata,"",@progbits
; Kernel info:
; codeLenInByte = 2168
; NumSgprs: 33
; NumVgprs: 118
; NumAgprs: 0
; TotalNumVgprs: 118
; ScratchSize: 0
; MemoryBound: 0
; FloatMode: 240
; IeeeMode: 1
; LDSByteSize: 1792 bytes/workgroup (compile time only)
; SGPRBlocks: 4
; VGPRBlocks: 14
; NumSGPRsForWavesPerEU: 33
; NumVGPRsForWavesPerEU: 118
; AccumOffset: 120
; Occupancy: 4
; WaveLimiterHint : 1
; COMPUTE_PGM_RSRC2:SCRATCH_EN: 0
; COMPUTE_PGM_RSRC2:USER_SGPR: 6
; COMPUTE_PGM_RSRC2:TRAP_HANDLER: 0
; COMPUTE_PGM_RSRC2:TGID_X_EN: 1
; COMPUTE_PGM_RSRC2:TGID_Y_EN: 1
; COMPUTE_PGM_RSRC2:TGID_Z_EN: 0
; COMPUTE_PGM_RSRC2:TIDIG_COMP_CNT: 0
; COMPUTE_PGM_RSRC3_GFX90A:ACCUM_OFFSET: 29
; COMPUTE_PGM_RSRC3_GFX90A:TG_SPLIT: 0
	.section	.text._ZN9rocsparseL29bsrmmnn_small_blockdim_kernelILj64ELj8ELj2Ell21rocsparse_complex_numIfES2_S2_S2_EEv20rocsparse_direction_T3_S4_llNS_24const_host_device_scalarIT7_EEPKT2_PKS4_PKT4_PKT5_llS7_PT6_ll16rocsparse_order_21rocsparse_index_base_b,"axG",@progbits,_ZN9rocsparseL29bsrmmnn_small_blockdim_kernelILj64ELj8ELj2Ell21rocsparse_complex_numIfES2_S2_S2_EEv20rocsparse_direction_T3_S4_llNS_24const_host_device_scalarIT7_EEPKT2_PKS4_PKT4_PKT5_llS7_PT6_ll16rocsparse_order_21rocsparse_index_base_b,comdat
	.globl	_ZN9rocsparseL29bsrmmnn_small_blockdim_kernelILj64ELj8ELj2Ell21rocsparse_complex_numIfES2_S2_S2_EEv20rocsparse_direction_T3_S4_llNS_24const_host_device_scalarIT7_EEPKT2_PKS4_PKT4_PKT5_llS7_PT6_ll16rocsparse_order_21rocsparse_index_base_b ; -- Begin function _ZN9rocsparseL29bsrmmnn_small_blockdim_kernelILj64ELj8ELj2Ell21rocsparse_complex_numIfES2_S2_S2_EEv20rocsparse_direction_T3_S4_llNS_24const_host_device_scalarIT7_EEPKT2_PKS4_PKT4_PKT5_llS7_PT6_ll16rocsparse_order_21rocsparse_index_base_b
	.p2align	8
	.type	_ZN9rocsparseL29bsrmmnn_small_blockdim_kernelILj64ELj8ELj2Ell21rocsparse_complex_numIfES2_S2_S2_EEv20rocsparse_direction_T3_S4_llNS_24const_host_device_scalarIT7_EEPKT2_PKS4_PKT4_PKT5_llS7_PT6_ll16rocsparse_order_21rocsparse_index_base_b,@function
_ZN9rocsparseL29bsrmmnn_small_blockdim_kernelILj64ELj8ELj2Ell21rocsparse_complex_numIfES2_S2_S2_EEv20rocsparse_direction_T3_S4_llNS_24const_host_device_scalarIT7_EEPKT2_PKS4_PKT4_PKT5_llS7_PT6_ll16rocsparse_order_21rocsparse_index_base_b: ; @_ZN9rocsparseL29bsrmmnn_small_blockdim_kernelILj64ELj8ELj2Ell21rocsparse_complex_numIfES2_S2_S2_EEv20rocsparse_direction_T3_S4_llNS_24const_host_device_scalarIT7_EEPKT2_PKS4_PKT4_PKT5_llS7_PT6_ll16rocsparse_order_21rocsparse_index_base_b
; %bb.0:
	s_load_dwordx4 s[20:23], s[4:5], 0x80
	s_load_dwordx2 s[8:9], s[4:5], 0x28
	s_load_dwordx2 s[2:3], s[4:5], 0x60
	s_waitcnt lgkmcnt(0)
	s_bitcmp1_b32 s22, 0
	s_cselect_b64 s[0:1], -1, 0
	s_xor_b64 s[10:11], s[0:1], -1
	s_and_b64 vcc, exec, s[0:1]
	v_mov_b32_e32 v4, s8
	s_cbranch_vccnz .LBB8_2
; %bb.1:
	v_pk_mov_b32 v[2:3], s[8:9], s[8:9] op_sel:[0,1]
	flat_load_dword v4, v[2:3]
.LBB8_2:
	v_cndmask_b32_e64 v1, 0, 1, s[10:11]
	v_cmp_ne_u32_e64 s[0:1], 1, v1
	s_andn2_b64 vcc, exec, s[10:11]
	v_mov_b32_e32 v5, s9
	s_cbranch_vccz .LBB8_32
; %bb.3:
	s_and_b64 vcc, exec, s[0:1]
	v_mov_b32_e32 v6, s2
	s_cbranch_vccz .LBB8_33
.LBB8_4:
	s_and_b64 vcc, exec, s[0:1]
	v_mov_b32_e32 v7, s3
	s_cbranch_vccnz .LBB8_6
.LBB8_5:
	v_pk_mov_b32 v[2:3], s[2:3], s[2:3] op_sel:[0,1]
	flat_load_dword v7, v[2:3] offset:4
.LBB8_6:
	s_waitcnt vmcnt(0) lgkmcnt(0)
	v_and_b32_e32 v1, 0x7fffffff, v4
	v_cmp_eq_u32_e32 vcc, 0, v1
	v_cmp_eq_f32_e64 s[0:1], 0, v5
	s_and_b64 s[8:9], vcc, s[0:1]
	s_mov_b64 s[0:1], -1
	s_and_saveexec_b64 s[2:3], s[8:9]
; %bb.7:
	v_and_b32_e32 v1, 0x7fffffff, v7
	v_cmp_neq_f32_e32 vcc, 1.0, v6
	v_cmp_ne_u32_e64 s[0:1], 0, v1
	s_or_b64 s[0:1], vcc, s[0:1]
	s_orn2_b64 s[0:1], s[0:1], exec
; %bb.8:
	s_or_b64 exec, exec, s[2:3]
	s_and_saveexec_b64 s[2:3], s[0:1]
	s_cbranch_execz .LBB8_31
; %bb.9:
	s_load_dword s0, s[4:5], 0x90
	s_load_dwordx4 s[16:19], s[4:5], 0x8
	s_add_u32 s1, s4, 0x90
	s_addc_u32 s3, s5, 0
	v_mov_b32_e32 v9, 0
	s_waitcnt lgkmcnt(0)
	s_cmp_lt_u32 s6, s0
	s_cselect_b32 s2, 12, 18
	s_add_u32 s2, s1, s2
	s_addc_u32 s3, s3, 0
	global_load_ushort v2, v9, s[2:3]
	s_mov_b32 s22, 0
	s_waitcnt vmcnt(0)
	v_mul_lo_u32 v1, s6, v2
	v_add_u32_e32 v1, v1, v0
	v_lshrrev_b32_e32 v8, 4, v1
	v_cmp_gt_i64_e32 vcc, s[16:17], v[8:9]
	s_and_b64 exec, exec, vcc
	s_cbranch_execz .LBB8_31
; %bb.10:
	s_load_dwordx8 s[8:15], s[4:5], 0x30
	s_load_dwordx4 s[24:27], s[4:5], 0x68
	s_load_dwordx2 s[2:3], s[4:5], 0x50
	v_and_b32_e32 v10, 7, v1
	v_mul_lo_u32 v2, s0, v2
	v_lshrrev_b32_e32 v11, 4, v2
	v_lshl_or_b32 v2, s7, 3, v10
	s_waitcnt lgkmcnt(0)
	v_mad_u64_u32 v[20:21], s[0:1], v2, s2, 0
	v_mov_b32_e32 v12, v21
	v_mov_b32_e32 v3, v9
	v_mad_u64_u32 v[12:13], s[0:1], v2, s3, v[12:13]
	v_mov_b32_e32 v21, v12
	v_lshlrev_b64 v[12:13], 3, v[2:3]
	s_load_dword s2, s[4:5], 0x0
	v_lshrrev_b32_e32 v0, 3, v0
	v_mov_b32_e32 v17, s25
	v_add_co_u32_e32 v16, vcc, s24, v12
	v_mov_b32_e32 v12, 0x600
	v_addc_co_u32_e32 v18, vcc, v17, v13, vcc
	v_lshl_or_b32 v34, v0, 6, v12
	v_and_b32_e32 v12, 0x7fffffff, v6
	v_cmp_ne_u32_e32 vcc, 0, v12
	v_cmp_neq_f32_e64 s[0:1], 0, v7
	s_or_b64 s[4:5], vcc, s[0:1]
	v_mul_u32_u24_e32 v12, 3, v10
	v_lshrrev_b32_e32 v14, 3, v1
	s_cmp_lg_u32 s20, 1
	v_lshlrev_b32_e32 v12, 3, v12
	s_movk_i32 s0, 0xc0
	s_cselect_b64 s[6:7], -1, 0
	s_waitcnt lgkmcnt(0)
	s_cmp_eq_u32 s2, 0
	v_mad_u32_u24 v36, v0, s0, v12
	v_mad_u64_u32 v[12:13], s[2:3], v14, s26, 0
	v_mul_u32_u24_e32 v37, 0xc0, v0
	v_mov_b32_e32 v0, v13
	v_mad_u64_u32 v[14:15], s[2:3], v14, s27, v[0:1]
	v_mov_b32_e32 v13, v14
	v_lshlrev_b64 v[12:13], 3, v[12:13]
	v_add_co_u32_e32 v12, vcc, v16, v12
	v_addc_co_u32_e32 v13, vcc, v18, v13, vcc
	v_mad_u64_u32 v[18:19], s[2:3], v2, s26, 0
	v_mov_b32_e32 v0, v19
	v_cmp_gt_i64_e64 s[0:1], s[18:19], v[2:3]
	v_mad_u64_u32 v[2:3], s[2:3], v2, s27, v[0:1]
	v_and_b32_e32 v0, -8, v1
	v_mov_b32_e32 v19, v2
	v_add_co_u32_e32 v2, vcc, s24, v0
	v_bfe_u32 v22, v1, 3, 1
	v_addc_co_u32_e32 v3, vcc, 0, v17, vcc
	v_lshlrev_b64 v[0:1], 3, v[18:19]
	v_add_co_u32_e32 v18, vcc, v2, v0
	v_addc_co_u32_e32 v19, vcc, v3, v1, vcc
	s_cselect_b64 s[2:3], -1, 0
	v_lshlrev_b64 v[2:3], 3, v[20:21]
	v_mov_b32_e32 v23, v9
	v_cndmask_b32_e64 v0, 0, 1, s[2:3]
	v_mov_b32_e32 v20, s15
	v_add_co_u32_e32 v38, vcc, s14, v2
	v_lshlrev_b64 v[0:1], v0, v[22:23]
	v_addc_co_u32_e32 v39, vcc, v20, v3, vcc
	v_subrev_co_u32_e32 v40, vcc, s21, v10
	v_lshlrev_b64 v[2:3], 3, v[0:1]
	s_and_b64 s[2:3], s[2:3], exec
	v_subb_co_u32_e64 v41, s[2:3], 0, 0, vcc
	v_mov_b32_e32 v20, s13
	v_add_co_u32_e32 v42, vcc, s12, v2
	s_cselect_b32 s18, 1, 2
	v_addc_co_u32_e32 v43, vcc, v20, v3, vcc
	v_add_co_u32_e32 v44, vcc, s18, v0
	s_mov_b32 s23, s21
	v_lshl_or_b32 v35, v10, 3, v34
	v_xor_b32_e32 v14, 0x80000000, v5
	v_xor_b32_e32 v16, 0x80000000, v7
	v_mov_b32_e32 v15, v4
	v_mov_b32_e32 v17, v6
	v_addc_co_u32_e32 v45, vcc, 0, v1, vcc
	s_mov_b64 s[14:15], 0
	s_branch .LBB8_12
.LBB8_11:                               ;   in Loop: Header=BB8_12 Depth=1
	s_or_b64 exec, exec, s[2:3]
	v_add_co_u32_e32 v8, vcc, v8, v11
	v_addc_co_u32_e32 v9, vcc, 0, v9, vcc
	v_cmp_le_i64_e32 vcc, s[16:17], v[8:9]
	s_or_b64 s[14:15], vcc, s[14:15]
	s_andn2_b64 exec, exec, s[14:15]
	s_cbranch_execz .LBB8_31
.LBB8_12:                               ; =>This Loop Header: Depth=1
                                        ;     Child Loop BB8_15 Depth 2
	v_lshlrev_b64 v[0:1], 3, v[8:9]
	v_mov_b32_e32 v2, s9
	v_add_co_u32_e32 v0, vcc, s8, v0
	v_addc_co_u32_e32 v1, vcc, v2, v1, vcc
	global_load_dwordx4 v[0:3], v[0:1], off
	v_mov_b32_e32 v27, 0
	v_mov_b32_e32 v26, v27
	s_waitcnt vmcnt(0)
	v_cmp_lt_i64_e32 vcc, v[0:1], v[2:3]
	s_and_saveexec_b64 s[18:19], vcc
	s_cbranch_execz .LBB8_20
; %bb.13:                               ;   in Loop: Header=BB8_12 Depth=1
	v_mov_b32_e32 v21, s22
	v_subrev_co_u32_e32 v2, vcc, s23, v2
	v_subb_co_u32_e32 v3, vcc, v3, v21, vcc
	v_subrev_co_u32_e32 v20, vcc, s23, v0
	v_subb_co_u32_e32 v21, vcc, v1, v21, vcc
	v_add_co_u32_e32 v24, vcc, v40, v0
	v_addc_co_u32_e32 v25, vcc, v41, v1, vcc
	v_lshlrev_b64 v[0:1], 3, v[24:25]
	v_mov_b32_e32 v22, s11
	v_add_co_u32_e32 v0, vcc, s10, v0
	v_addc_co_u32_e32 v1, vcc, v22, v1, vcc
	v_lshlrev_b64 v[22:23], 5, v[24:25]
	v_add_co_u32_e32 v22, vcc, v42, v22
	v_addc_co_u32_e32 v23, vcc, v43, v23, vcc
	v_lshlrev_b64 v[24:25], 2, v[24:25]
	;; [unrolled: 3-line block ×3, first 2 shown]
	v_mov_b32_e32 v26, s13
	v_add_co_u32_e32 v24, vcc, s12, v24
	v_addc_co_u32_e32 v25, vcc, v26, v25, vcc
	v_mov_b32_e32 v26, 0
	s_mov_b64 s[20:21], 0
	v_mov_b32_e32 v27, v26
	s_branch .LBB8_15
.LBB8_14:                               ;   in Loop: Header=BB8_15 Depth=2
	s_or_b64 exec, exec, s[2:3]
	v_add_co_u32_e32 v20, vcc, 8, v20
	v_addc_co_u32_e32 v21, vcc, 0, v21, vcc
	v_add_co_u32_e32 v0, vcc, 64, v0
	v_addc_co_u32_e32 v1, vcc, 0, v1, vcc
	;; [unrolled: 2-line block ×3, first 2 shown]
	v_add_co_u32_e32 v24, vcc, 0x100, v24
	v_cmp_ge_i64_e64 s[2:3], v[20:21], v[2:3]
	s_or_b64 s[20:21], s[2:3], s[20:21]
	v_addc_co_u32_e32 v25, vcc, 0, v25, vcc
	s_andn2_b64 exec, exec, s[20:21]
	s_cbranch_execz .LBB8_19
.LBB8_15:                               ;   Parent Loop BB8_12 Depth=1
                                        ; =>  This Inner Loop Header: Depth=2
	v_add_co_u32_e32 v28, vcc, v10, v20
	v_addc_co_u32_e32 v29, vcc, 0, v21, vcc
	v_cmp_lt_i64_e32 vcc, v[28:29], v[2:3]
	v_pk_mov_b32 v[32:33], 0, 0
	v_mov_b32_e32 v28, 0
	v_mov_b32_e32 v29, 0
	;; [unrolled: 1-line block ×4, first 2 shown]
	s_and_saveexec_b64 s[2:3], vcc
	s_cbranch_execz .LBB8_17
; %bb.16:                               ;   in Loop: Header=BB8_15 Depth=2
	global_load_dwordx2 v[32:33], v[0:1], off
	global_load_dwordx2 v[28:29], v[22:23], off
	global_load_dwordx2 v[30:31], v[24:25], off
	v_mov_b32_e32 v46, s22
	s_waitcnt vmcnt(2)
	v_subrev_co_u32_e32 v32, vcc, s23, v32
	v_subb_co_u32_e32 v33, vcc, v33, v46, vcc
	v_lshlrev_b64 v[32:33], 1, v[32:33]
.LBB8_17:                               ;   in Loop: Header=BB8_15 Depth=2
	s_or_b64 exec, exec, s[2:3]
	ds_write_b64 v35, v[32:33]
	s_waitcnt vmcnt(0)
	ds_write2_b64 v36, v[28:29], v[30:31] offset1:1
	s_waitcnt lgkmcnt(0)
	; wave barrier
	s_waitcnt lgkmcnt(0)
	s_and_saveexec_b64 s[2:3], s[0:1]
	s_cbranch_execz .LBB8_14
; %bb.18:                               ;   in Loop: Header=BB8_15 Depth=2
	ds_read_b128 v[28:31], v34
	ds_read_b128 v[46:49], v34 offset:16
	ds_read_b128 v[50:53], v34 offset:32
	;; [unrolled: 1-line block ×3, first 2 shown]
	s_waitcnt lgkmcnt(3)
	v_lshlrev_b64 v[28:29], 3, v[28:29]
	v_add_co_u32_e32 v28, vcc, v38, v28
	v_addc_co_u32_e32 v29, vcc, v39, v29, vcc
	global_load_dwordx4 v[54:57], v[28:29], off
	v_lshlrev_b64 v[28:29], 3, v[30:31]
	v_add_co_u32_e32 v28, vcc, v38, v28
	v_addc_co_u32_e32 v29, vcc, v39, v29, vcc
	global_load_dwordx4 v[28:31], v[28:29], off
	s_waitcnt lgkmcnt(2)
	v_lshlrev_b64 v[32:33], 3, v[46:47]
	v_add_co_u32_e32 v32, vcc, v38, v32
	v_lshlrev_b64 v[62:63], 3, v[48:49]
	v_addc_co_u32_e32 v33, vcc, v39, v33, vcc
	global_load_dwordx4 v[46:49], v[32:33], off
	v_add_co_u32_e32 v32, vcc, v38, v62
	s_waitcnt lgkmcnt(1)
	v_lshlrev_b64 v[50:51], 3, v[50:51]
	v_addc_co_u32_e32 v33, vcc, v39, v63, vcc
	v_add_co_u32_e32 v66, vcc, v38, v50
	v_lshlrev_b64 v[52:53], 3, v[52:53]
	v_addc_co_u32_e32 v67, vcc, v39, v51, vcc
	v_add_co_u32_e32 v74, vcc, v38, v52
	v_addc_co_u32_e32 v75, vcc, v39, v53, vcc
	global_load_dwordx4 v[50:53], v[32:33], off
	global_load_dwordx4 v[62:65], v[66:67], off
	s_waitcnt lgkmcnt(0)
	v_lshlrev_b64 v[58:59], 3, v[58:59]
	v_add_co_u32_e32 v32, vcc, v38, v58
	v_addc_co_u32_e32 v33, vcc, v39, v59, vcc
	global_load_dwordx4 v[66:69], v[74:75], off
	global_load_dwordx4 v[70:73], v[32:33], off
	v_lshlrev_b64 v[32:33], 3, v[60:61]
	v_add_co_u32_e32 v32, vcc, v38, v32
	v_addc_co_u32_e32 v33, vcc, v39, v33, vcc
	global_load_dwordx4 v[58:61], v[32:33], off
	ds_read_b128 v[74:77], v37
	ds_read2_b64 v[78:81], v37 offset0:3 offset1:4
	ds_read_b128 v[82:85], v37 offset:48
	ds_read2_b64 v[86:89], v37 offset0:9 offset1:10
	ds_read_b128 v[90:93], v37 offset:96
	;; [unrolled: 2-line block ×3, first 2 shown]
	s_waitcnt lgkmcnt(6)
	v_xor_b32_e32 v32, 0x80000000, v77
	v_mov_b32_e32 v33, v76
	s_waitcnt vmcnt(7)
	v_pk_fma_f32 v[26:27], v[74:75], v[54:55], v[26:27] op_sel_hi:[1,0,1]
	v_pk_fma_f32 v[26:27], v[74:75], v[54:55], v[26:27] op_sel:[1,1,0] op_sel_hi:[0,1,1] neg_lo:[1,0,0]
	v_pk_fma_f32 v[26:27], v[76:77], v[56:57], v[26:27] op_sel_hi:[1,0,1]
	v_mov_b32_e32 v54, v57
	v_pk_fma_f32 v[26:27], v[32:33], v[54:55], v[26:27] op_sel_hi:[1,0,1]
	s_waitcnt lgkmcnt(5)
	v_xor_b32_e32 v56, 0x80000000, v81
	s_waitcnt vmcnt(6)
	v_pk_fma_f32 v[26:27], v[78:79], v[28:29], v[26:27] op_sel_hi:[1,0,1]
	v_pk_fma_f32 v[26:27], v[78:79], v[28:29], v[26:27] op_sel:[1,1,0] op_sel_hi:[0,1,1] neg_lo:[1,0,0]
	v_mov_b32_e32 v57, v80
	v_pk_fma_f32 v[26:27], v[80:81], v[30:31], v[26:27] op_sel_hi:[1,0,1]
	v_mov_b32_e32 v30, v31
	v_pk_fma_f32 v[26:27], v[56:57], v[30:31], v[26:27] op_sel_hi:[1,0,1]
	s_waitcnt lgkmcnt(4)
	v_xor_b32_e32 v32, 0x80000000, v85
	s_waitcnt vmcnt(5)
	v_pk_fma_f32 v[26:27], v[82:83], v[46:47], v[26:27] op_sel_hi:[1,0,1]
	v_pk_fma_f32 v[26:27], v[82:83], v[46:47], v[26:27] op_sel:[1,1,0] op_sel_hi:[0,1,1] neg_lo:[1,0,0]
	v_mov_b32_e32 v33, v84
	v_mov_b32_e32 v56, v49
	v_pk_fma_f32 v[26:27], v[84:85], v[48:49], v[26:27] op_sel_hi:[1,0,1]
	v_pk_fma_f32 v[26:27], v[32:33], v[56:57], v[26:27] op_sel_hi:[1,0,1]
	s_waitcnt lgkmcnt(3)
	v_xor_b32_e32 v54, 0x80000000, v89
	v_mov_b32_e32 v55, v88
	s_waitcnt lgkmcnt(2)
	v_xor_b32_e32 v28, 0x80000000, v93
	v_mov_b32_e32 v29, v92
	;; [unrolled: 3-line block ×3, first 2 shown]
	ds_read2_b64 v[74:77], v37 offset0:21 offset1:22
	s_waitcnt lgkmcnt(1)
	v_xor_b32_e32 v80, 0x80000000, v101
	s_waitcnt vmcnt(4)
	v_pk_fma_f32 v[26:27], v[86:87], v[50:51], v[26:27] op_sel_hi:[1,0,1]
	v_pk_fma_f32 v[26:27], v[86:87], v[50:51], v[26:27] op_sel:[1,1,0] op_sel_hi:[0,1,1] neg_lo:[1,0,0]
	v_mov_b32_e32 v46, v53
	v_pk_fma_f32 v[26:27], v[88:89], v[52:53], v[26:27] op_sel_hi:[1,0,1]
	v_pk_fma_f32 v[26:27], v[54:55], v[46:47], v[26:27] op_sel_hi:[1,0,1]
	s_waitcnt vmcnt(3)
	v_pk_fma_f32 v[26:27], v[90:91], v[62:63], v[26:27] op_sel_hi:[1,0,1]
	v_pk_fma_f32 v[26:27], v[90:91], v[62:63], v[26:27] op_sel:[1,1,0] op_sel_hi:[0,1,1] neg_lo:[1,0,0]
	v_mov_b32_e32 v48, v65
	v_pk_fma_f32 v[26:27], v[92:93], v[64:65], v[26:27] op_sel_hi:[1,0,1]
	v_pk_fma_f32 v[26:27], v[28:29], v[48:49], v[26:27] op_sel_hi:[1,0,1]
	;; [unrolled: 6-line block ×3, first 2 shown]
	s_waitcnt vmcnt(1)
	v_pk_fma_f32 v[26:27], v[98:99], v[70:71], v[26:27] op_sel_hi:[1,0,1]
	v_pk_fma_f32 v[26:27], v[98:99], v[70:71], v[26:27] op_sel:[1,1,0] op_sel_hi:[0,1,1] neg_lo:[1,0,0]
	v_mov_b32_e32 v81, v100
	v_mov_b32_e32 v84, v73
	v_pk_fma_f32 v[26:27], v[100:101], v[72:73], v[26:27] op_sel_hi:[1,0,1]
	v_pk_fma_f32 v[26:27], v[80:81], v[84:85], v[26:27] op_sel_hi:[1,0,1]
	s_waitcnt vmcnt(0) lgkmcnt(0)
	v_pk_fma_f32 v[26:27], v[74:75], v[58:59], v[26:27] op_sel_hi:[1,0,1]
	v_pk_fma_f32 v[26:27], v[74:75], v[58:59], v[26:27] op_sel:[1,1,0] op_sel_hi:[0,1,1] neg_lo:[1,0,0]
	v_xor_b32_e32 v30, 0x80000000, v77
	v_mov_b32_e32 v31, v76
	v_pk_fma_f32 v[26:27], v[76:77], v[60:61], v[26:27] op_sel_hi:[1,0,1]
	v_mov_b32_e32 v28, v61
	v_pk_fma_f32 v[26:27], v[30:31], v[28:29], v[26:27] op_sel_hi:[1,0,1]
	s_branch .LBB8_14
.LBB8_19:                               ;   in Loop: Header=BB8_12 Depth=1
	s_or_b64 exec, exec, s[20:21]
.LBB8_20:                               ;   in Loop: Header=BB8_12 Depth=1
	s_or_b64 exec, exec, s[18:19]
	s_and_saveexec_b64 s[2:3], s[0:1]
	s_cbranch_execz .LBB8_11
; %bb.21:                               ;   in Loop: Header=BB8_12 Depth=1
	v_mov_b32_e32 v0, v27
	v_pk_mul_f32 v[0:1], v[0:1], v[14:15] op_sel_hi:[0,1]
	v_pk_fma_f32 v[0:1], v[4:5], v[26:27], v[0:1] op_sel_hi:[1,0,1]
	s_and_saveexec_b64 s[18:19], s[4:5]
	s_xor_b64 s[18:19], exec, s[18:19]
	s_cbranch_execz .LBB8_26
; %bb.22:                               ;   in Loop: Header=BB8_12 Depth=1
	s_mov_b64 s[20:21], -1
	s_and_b64 vcc, exec, s[6:7]
	s_cbranch_vccz .LBB8_24
; %bb.23:                               ;   in Loop: Header=BB8_12 Depth=1
	global_load_dwordx2 v[2:3], v[12:13], off
	s_mov_b64 s[20:21], 0
	s_waitcnt vmcnt(0)
	v_pk_fma_f32 v[20:21], v[6:7], v[2:3], v[0:1] op_sel_hi:[1,0,1]
	v_pk_fma_f32 v[2:3], v[16:17], v[2:3], v[20:21] op_sel:[0,1,0]
	global_store_dwordx2 v[12:13], v[2:3], off
.LBB8_24:                               ;   in Loop: Header=BB8_12 Depth=1
	s_andn2_b64 vcc, exec, s[20:21]
	s_cbranch_vccnz .LBB8_26
; %bb.25:                               ;   in Loop: Header=BB8_12 Depth=1
	global_load_dwordx2 v[2:3], v[18:19], off
	s_waitcnt vmcnt(0)
	v_pk_fma_f32 v[0:1], v[6:7], v[2:3], v[0:1] op_sel_hi:[1,0,1]
	v_pk_fma_f32 v[0:1], v[16:17], v[2:3], v[0:1] op_sel:[0,1,0]
	global_store_dwordx2 v[18:19], v[0:1], off
                                        ; implicit-def: $vgpr0_vgpr1
.LBB8_26:                               ;   in Loop: Header=BB8_12 Depth=1
	s_andn2_saveexec_b64 s[18:19], s[18:19]
	s_cbranch_execz .LBB8_11
; %bb.27:                               ;   in Loop: Header=BB8_12 Depth=1
	s_mov_b64 s[18:19], -1
	s_and_b64 vcc, exec, s[6:7]
	s_cbranch_vccz .LBB8_29
; %bb.28:                               ;   in Loop: Header=BB8_12 Depth=1
	global_store_dwordx2 v[12:13], v[0:1], off
	s_mov_b64 s[18:19], 0
.LBB8_29:                               ;   in Loop: Header=BB8_12 Depth=1
	s_andn2_b64 vcc, exec, s[18:19]
	s_cbranch_vccnz .LBB8_11
; %bb.30:                               ;   in Loop: Header=BB8_12 Depth=1
	global_store_dwordx2 v[18:19], v[0:1], off
	s_branch .LBB8_11
.LBB8_31:
	s_endpgm
.LBB8_32:
	v_pk_mov_b32 v[2:3], s[8:9], s[8:9] op_sel:[0,1]
	flat_load_dword v5, v[2:3] offset:4
	s_and_b64 vcc, exec, s[0:1]
	v_mov_b32_e32 v6, s2
	s_cbranch_vccnz .LBB8_4
.LBB8_33:
	v_pk_mov_b32 v[2:3], s[2:3], s[2:3] op_sel:[0,1]
	flat_load_dword v6, v[2:3]
	s_and_b64 vcc, exec, s[0:1]
	v_mov_b32_e32 v7, s3
	s_cbranch_vccz .LBB8_5
	s_branch .LBB8_6
	.section	.rodata,"a",@progbits
	.p2align	6, 0x0
	.amdhsa_kernel _ZN9rocsparseL29bsrmmnn_small_blockdim_kernelILj64ELj8ELj2Ell21rocsparse_complex_numIfES2_S2_S2_EEv20rocsparse_direction_T3_S4_llNS_24const_host_device_scalarIT7_EEPKT2_PKS4_PKT4_PKT5_llS7_PT6_ll16rocsparse_order_21rocsparse_index_base_b
		.amdhsa_group_segment_fixed_size 2048
		.amdhsa_private_segment_fixed_size 0
		.amdhsa_kernarg_size 400
		.amdhsa_user_sgpr_count 6
		.amdhsa_user_sgpr_private_segment_buffer 1
		.amdhsa_user_sgpr_dispatch_ptr 0
		.amdhsa_user_sgpr_queue_ptr 0
		.amdhsa_user_sgpr_kernarg_segment_ptr 1
		.amdhsa_user_sgpr_dispatch_id 0
		.amdhsa_user_sgpr_flat_scratch_init 0
		.amdhsa_user_sgpr_kernarg_preload_length 0
		.amdhsa_user_sgpr_kernarg_preload_offset 0
		.amdhsa_user_sgpr_private_segment_size 0
		.amdhsa_uses_dynamic_stack 0
		.amdhsa_system_sgpr_private_segment_wavefront_offset 0
		.amdhsa_system_sgpr_workgroup_id_x 1
		.amdhsa_system_sgpr_workgroup_id_y 1
		.amdhsa_system_sgpr_workgroup_id_z 0
		.amdhsa_system_sgpr_workgroup_info 0
		.amdhsa_system_vgpr_workitem_id 0
		.amdhsa_next_free_vgpr 102
		.amdhsa_next_free_sgpr 28
		.amdhsa_accum_offset 104
		.amdhsa_reserve_vcc 1
		.amdhsa_reserve_flat_scratch 0
		.amdhsa_float_round_mode_32 0
		.amdhsa_float_round_mode_16_64 0
		.amdhsa_float_denorm_mode_32 3
		.amdhsa_float_denorm_mode_16_64 3
		.amdhsa_dx10_clamp 1
		.amdhsa_ieee_mode 1
		.amdhsa_fp16_overflow 0
		.amdhsa_tg_split 0
		.amdhsa_exception_fp_ieee_invalid_op 0
		.amdhsa_exception_fp_denorm_src 0
		.amdhsa_exception_fp_ieee_div_zero 0
		.amdhsa_exception_fp_ieee_overflow 0
		.amdhsa_exception_fp_ieee_underflow 0
		.amdhsa_exception_fp_ieee_inexact 0
		.amdhsa_exception_int_div_zero 0
	.end_amdhsa_kernel
	.section	.text._ZN9rocsparseL29bsrmmnn_small_blockdim_kernelILj64ELj8ELj2Ell21rocsparse_complex_numIfES2_S2_S2_EEv20rocsparse_direction_T3_S4_llNS_24const_host_device_scalarIT7_EEPKT2_PKS4_PKT4_PKT5_llS7_PT6_ll16rocsparse_order_21rocsparse_index_base_b,"axG",@progbits,_ZN9rocsparseL29bsrmmnn_small_blockdim_kernelILj64ELj8ELj2Ell21rocsparse_complex_numIfES2_S2_S2_EEv20rocsparse_direction_T3_S4_llNS_24const_host_device_scalarIT7_EEPKT2_PKS4_PKT4_PKT5_llS7_PT6_ll16rocsparse_order_21rocsparse_index_base_b,comdat
.Lfunc_end8:
	.size	_ZN9rocsparseL29bsrmmnn_small_blockdim_kernelILj64ELj8ELj2Ell21rocsparse_complex_numIfES2_S2_S2_EEv20rocsparse_direction_T3_S4_llNS_24const_host_device_scalarIT7_EEPKT2_PKS4_PKT4_PKT5_llS7_PT6_ll16rocsparse_order_21rocsparse_index_base_b, .Lfunc_end8-_ZN9rocsparseL29bsrmmnn_small_blockdim_kernelILj64ELj8ELj2Ell21rocsparse_complex_numIfES2_S2_S2_EEv20rocsparse_direction_T3_S4_llNS_24const_host_device_scalarIT7_EEPKT2_PKS4_PKT4_PKT5_llS7_PT6_ll16rocsparse_order_21rocsparse_index_base_b
                                        ; -- End function
	.section	.AMDGPU.csdata,"",@progbits
; Kernel info:
; codeLenInByte = 2156
; NumSgprs: 32
; NumVgprs: 102
; NumAgprs: 0
; TotalNumVgprs: 102
; ScratchSize: 0
; MemoryBound: 1
; FloatMode: 240
; IeeeMode: 1
; LDSByteSize: 2048 bytes/workgroup (compile time only)
; SGPRBlocks: 3
; VGPRBlocks: 12
; NumSGPRsForWavesPerEU: 32
; NumVGPRsForWavesPerEU: 102
; AccumOffset: 104
; Occupancy: 4
; WaveLimiterHint : 1
; COMPUTE_PGM_RSRC2:SCRATCH_EN: 0
; COMPUTE_PGM_RSRC2:USER_SGPR: 6
; COMPUTE_PGM_RSRC2:TRAP_HANDLER: 0
; COMPUTE_PGM_RSRC2:TGID_X_EN: 1
; COMPUTE_PGM_RSRC2:TGID_Y_EN: 1
; COMPUTE_PGM_RSRC2:TGID_Z_EN: 0
; COMPUTE_PGM_RSRC2:TIDIG_COMP_CNT: 0
; COMPUTE_PGM_RSRC3_GFX90A:ACCUM_OFFSET: 25
; COMPUTE_PGM_RSRC3_GFX90A:TG_SPLIT: 0
	.section	.text._ZN9rocsparseL29bsrmmnn_small_blockdim_kernelILj64ELj8ELj2Eii21rocsparse_complex_numIdES2_S2_S2_EEv20rocsparse_direction_T3_S4_llNS_24const_host_device_scalarIT7_EEPKT2_PKS4_PKT4_PKT5_llS7_PT6_ll16rocsparse_order_21rocsparse_index_base_b,"axG",@progbits,_ZN9rocsparseL29bsrmmnn_small_blockdim_kernelILj64ELj8ELj2Eii21rocsparse_complex_numIdES2_S2_S2_EEv20rocsparse_direction_T3_S4_llNS_24const_host_device_scalarIT7_EEPKT2_PKS4_PKT4_PKT5_llS7_PT6_ll16rocsparse_order_21rocsparse_index_base_b,comdat
	.globl	_ZN9rocsparseL29bsrmmnn_small_blockdim_kernelILj64ELj8ELj2Eii21rocsparse_complex_numIdES2_S2_S2_EEv20rocsparse_direction_T3_S4_llNS_24const_host_device_scalarIT7_EEPKT2_PKS4_PKT4_PKT5_llS7_PT6_ll16rocsparse_order_21rocsparse_index_base_b ; -- Begin function _ZN9rocsparseL29bsrmmnn_small_blockdim_kernelILj64ELj8ELj2Eii21rocsparse_complex_numIdES2_S2_S2_EEv20rocsparse_direction_T3_S4_llNS_24const_host_device_scalarIT7_EEPKT2_PKS4_PKT4_PKT5_llS7_PT6_ll16rocsparse_order_21rocsparse_index_base_b
	.p2align	8
	.type	_ZN9rocsparseL29bsrmmnn_small_blockdim_kernelILj64ELj8ELj2Eii21rocsparse_complex_numIdES2_S2_S2_EEv20rocsparse_direction_T3_S4_llNS_24const_host_device_scalarIT7_EEPKT2_PKS4_PKT4_PKT5_llS7_PT6_ll16rocsparse_order_21rocsparse_index_base_b,@function
_ZN9rocsparseL29bsrmmnn_small_blockdim_kernelILj64ELj8ELj2Eii21rocsparse_complex_numIdES2_S2_S2_EEv20rocsparse_direction_T3_S4_llNS_24const_host_device_scalarIT7_EEPKT2_PKS4_PKT4_PKT5_llS7_PT6_ll16rocsparse_order_21rocsparse_index_base_b: ; @_ZN9rocsparseL29bsrmmnn_small_blockdim_kernelILj64ELj8ELj2Eii21rocsparse_complex_numIdES2_S2_S2_EEv20rocsparse_direction_T3_S4_llNS_24const_host_device_scalarIT7_EEPKT2_PKS4_PKT4_PKT5_llS7_PT6_ll16rocsparse_order_21rocsparse_index_base_b
; %bb.0:
	s_add_u32 flat_scratch_lo, s6, s10
	s_load_dwordx4 s[20:23], s[4:5], 0x88
	s_load_dwordx4 s[16:19], s[4:5], 0x20
	s_addc_u32 flat_scratch_hi, s7, 0
	s_add_u32 s0, s0, s10
	s_load_dwordx4 s[12:15], s[4:5], 0x60
	s_addc_u32 s1, s1, 0
	s_waitcnt lgkmcnt(0)
	s_bitcmp1_b32 s22, 0
	v_mov_b32_e32 v1, 0
	v_mov_b32_e32 v3, s16
	s_cselect_b64 s[6:7], -1, 0
	v_cndmask_b32_e64 v2, v3, v1, s[6:7]
	v_mov_b32_e32 v1, s17
	s_mov_b64 s[10:11], src_private_base
	s_and_b64 vcc, s[6:7], exec
	buffer_store_dword v1, off, s[0:3], 0 offset:4
	buffer_store_dword v3, off, s[0:3], 0
	v_mov_b32_e32 v1, s13
	s_cselect_b32 s10, s11, s17
	buffer_store_dword v1, off, s[0:3], 0 offset:12
	v_mov_b32_e32 v1, s12
	buffer_store_dword v1, off, s[0:3], 0 offset:8
	v_mov_b32_e32 v3, s10
	flat_load_dwordx2 v[32:33], v[2:3]
	s_xor_b64 s[22:23], s[6:7], -1
	v_pk_mov_b32 v[34:35], s[18:19], s[18:19] op_sel:[0,1]
	s_cbranch_vccnz .LBB9_2
; %bb.1:
	v_pk_mov_b32 v[2:3], s[16:17], s[16:17] op_sel:[0,1]
	flat_load_dwordx2 v[34:35], v[2:3] offset:8
.LBB9_2:
	s_and_b64 s[16:17], s[6:7], exec
	s_cselect_b32 s10, s11, s13
	v_mov_b32_e32 v1, 8
	v_mov_b32_e32 v2, s12
	v_cndmask_b32_e64 v2, v2, v1, s[6:7]
	v_mov_b32_e32 v3, s10
	flat_load_dwordx2 v[36:37], v[2:3]
	s_andn2_b64 vcc, exec, s[22:23]
	v_pk_mov_b32 v[38:39], s[14:15], s[14:15] op_sel:[0,1]
	s_cbranch_vccnz .LBB9_4
; %bb.3:
	v_pk_mov_b32 v[2:3], s[12:13], s[12:13] op_sel:[0,1]
	flat_load_dwordx2 v[38:39], v[2:3] offset:8
.LBB9_4:
	s_waitcnt vmcnt(0) lgkmcnt(0)
	v_cmp_eq_f64_e32 vcc, 0, v[32:33]
	v_cmp_eq_f64_e64 s[6:7], 0, v[34:35]
	s_and_b64 s[12:13], vcc, s[6:7]
	s_mov_b64 s[6:7], -1
	s_and_saveexec_b64 s[10:11], s[12:13]
; %bb.5:
	v_cmp_neq_f64_e32 vcc, 1.0, v[36:37]
	v_cmp_neq_f64_e64 s[6:7], 0, v[38:39]
	s_or_b64 s[6:7], vcc, s[6:7]
	s_orn2_b64 s[6:7], s[6:7], exec
; %bb.6:
	s_or_b64 exec, exec, s[10:11]
	s_and_saveexec_b64 s[10:11], s[6:7]
	s_cbranch_execz .LBB9_29
; %bb.7:
	s_load_dword s6, s[4:5], 0x98
	s_load_dwordx4 s[24:27], s[4:5], 0x0
	s_add_u32 s7, s4, 0x98
	s_addc_u32 s11, s5, 0
	v_mov_b32_e32 v41, 0
	s_waitcnt lgkmcnt(0)
	s_cmp_lt_u32 s8, s6
	s_cselect_b32 s10, 12, 18
	s_add_u32 s10, s7, s10
	s_addc_u32 s11, s11, 0
	global_load_ushort v2, v41, s[10:11]
	s_waitcnt vmcnt(0)
	v_mul_lo_u32 v1, s8, v2
	v_add_u32_e32 v1, v1, v0
	v_lshrrev_b32_e32 v42, 4, v1
	v_cmp_gt_i32_e32 vcc, s25, v42
	s_and_b64 exec, exec, vcc
	s_cbranch_execz .LBB9_29
; %bb.8:
	v_and_b32_e32 v54, 7, v1
	v_mul_lo_u32 v2, s6, v2
	s_load_dwordx4 s[28:31], s[4:5], 0x70
	s_load_dwordx2 s[6:7], s[4:5], 0x50
	v_lshrrev_b32_e32 v4, 3, v0
	v_lshl_or_b32 v0, s9, 3, v54
	v_lshrrev_b32_e32 v40, 3, v1
	v_bfe_u32 v6, v1, 3, 1
	v_ashrrev_i32_e32 v1, 31, v0
	v_lshrrev_b32_e32 v55, 4, v2
	v_lshlrev_b64 v[2:3], 4, v[0:1]
	s_load_dwordx8 s[12:19], s[4:5], 0x30
	s_waitcnt lgkmcnt(0)
	v_mov_b32_e32 v7, s29
	v_add_co_u32_e32 v8, vcc, s28, v2
	v_addc_co_u32_e32 v9, vcc, v7, v3, vcc
	v_mul_lo_u32 v5, v1, s6
	v_mul_lo_u32 v10, v0, s7
	v_mad_u64_u32 v[2:3], s[4:5], v0, s6, 0
	v_add3_u32 v3, v3, v10, v5
	v_mov_b32_e32 v5, 0xc00
	v_lshl_or_b32 v56, v4, 5, v5
	v_cmp_neq_f64_e32 vcc, 0, v[36:37]
	v_cmp_neq_f64_e64 s[4:5], 0, v[38:39]
	v_mul_u32_u24_e32 v5, 3, v54
	s_or_b64 s[8:9], vcc, s[4:5]
	v_lshlrev_b32_e32 v5, 4, v5
	s_movk_i32 s4, 0x180
	v_lshlrev_b64 v[2:3], 4, v[2:3]
	v_mad_u32_u24 v58, v4, s4, v5
	v_mul_u32_u24_e32 v59, 0x180, v4
	v_mov_b32_e32 v4, s19
	v_add_co_u32_e32 v60, vcc, s18, v2
	v_addc_co_u32_e32 v61, vcc, v4, v3, vcc
	v_mad_u64_u32 v[2:3], s[18:19], v40, s30, 0
	v_mov_b32_e32 v4, v3
	v_mad_u64_u32 v[4:5], s[18:19], v40, s31, v[4:5]
	v_mov_b32_e32 v3, v4
	v_lshlrev_b64 v[2:3], 4, v[2:3]
	v_add_co_u32_e32 v44, vcc, v8, v2
	v_cmp_gt_i32_e64 s[4:5], s26, v0
	v_addc_co_u32_e32 v45, vcc, v9, v3, vcc
	v_mul_lo_u32 v2, v1, s30
	v_mul_lo_u32 v3, v0, s31
	v_mad_u64_u32 v[0:1], s[18:19], v0, s30, 0
	v_add3_u32 v1, v1, v3, v2
	s_cmp_lg_u32 s20, 1
	v_lshlrev_b64 v[0:1], 4, v[0:1]
	s_cselect_b64 s[10:11], -1, 0
	s_cmp_eq_u32 s24, 0
	v_add_co_u32_e32 v2, vcc, s28, v0
	v_addc_co_u32_e32 v3, vcc, v7, v1, vcc
	v_lshlrev_b64 v[0:1], 4, v[40:41]
	s_cselect_b64 s[18:19], -1, 0
	v_add_co_u32_e32 v46, vcc, v2, v0
	v_cndmask_b32_e64 v0, 0, 1, s[18:19]
	s_and_b64 s[18:19], s[18:19], exec
	v_lshl_or_b32 v57, v54, 2, v56
	s_mov_b64 s[6:7], 0
	v_addc_co_u32_e32 v47, vcc, v3, v1, vcc
	s_cselect_b32 s20, 1, 2
	v_lshlrev_b32_e32 v62, v0, v6
	v_subrev_u32_e32 v63, s21, v54
	v_mov_b32_e32 v64, s13
	s_branch .LBB9_10
.LBB9_9:                                ;   in Loop: Header=BB9_10 Depth=1
	s_or_b64 exec, exec, s[18:19]
	v_add_u32_e32 v42, v42, v55
	v_cmp_le_i32_e32 vcc, s25, v42
	s_or_b64 s[6:7], vcc, s[6:7]
	s_andn2_b64 exec, exec, s[6:7]
	s_cbranch_execz .LBB9_29
.LBB9_10:                               ; =>This Loop Header: Depth=1
                                        ;     Child Loop BB9_13 Depth 2
	v_mov_b32_e32 v43, v41
	v_lshlrev_b64 v[0:1], 2, v[42:43]
	v_add_co_u32_e32 v0, vcc, s12, v0
	v_addc_co_u32_e32 v1, vcc, v64, v1, vcc
	global_load_dwordx2 v[0:1], v[0:1], off
	v_pk_mov_b32 v[48:49], 0, 0
	v_pk_mov_b32 v[52:53], v[48:49], v[48:49] op_sel:[0,1]
	s_waitcnt vmcnt(0)
	v_cmp_lt_i32_e32 vcc, v0, v1
	s_and_saveexec_b64 s[18:19], vcc
	s_cbranch_execz .LBB9_18
; %bb.11:                               ;   in Loop: Header=BB9_10 Depth=1
	v_subrev_u32_e32 v65, s21, v0
	v_add_u32_e32 v0, v63, v0
	v_pk_mov_b32 v[50:51], 0, 0
	v_subrev_u32_e32 v43, s21, v1
	v_lshl_or_b32 v40, v0, 2, v62
	s_mov_b64 s[22:23], 0
	v_pk_mov_b32 v[48:49], v[50:51], v[50:51] op_sel:[0,1]
	v_pk_mov_b32 v[52:53], v[50:51], v[50:51] op_sel:[0,1]
	s_branch .LBB9_13
.LBB9_12:                               ;   in Loop: Header=BB9_13 Depth=2
	s_or_b64 exec, exec, s[26:27]
	v_add_u32_e32 v65, 8, v65
	v_cmp_ge_i32_e32 vcc, v65, v43
	s_or_b64 s[22:23], vcc, s[22:23]
	v_add_u32_e32 v40, 32, v40
	s_andn2_b64 exec, exec, s[22:23]
	s_cbranch_execz .LBB9_17
.LBB9_13:                               ;   Parent Loop BB9_10 Depth=1
                                        ; =>  This Inner Loop Header: Depth=2
	v_add_u32_e32 v8, v54, v65
	v_cmp_lt_i32_e32 vcc, v8, v43
	v_mov_b32_e32 v9, 0
	v_pk_mov_b32 v[4:5], v[50:51], v[50:51] op_sel:[0,1]
	v_pk_mov_b32 v[6:7], v[50:51], v[50:51] op_sel:[0,1]
	;; [unrolled: 1-line block ×4, first 2 shown]
	s_and_saveexec_b64 s[26:27], vcc
	s_cbranch_execz .LBB9_15
; %bb.14:                               ;   in Loop: Header=BB9_13 Depth=2
	v_ashrrev_i32_e32 v9, 31, v8
	v_lshlrev_b64 v[0:1], 2, v[8:9]
	v_mov_b32_e32 v2, s15
	v_add_co_u32_e32 v0, vcc, s14, v0
	v_addc_co_u32_e32 v1, vcc, v2, v1, vcc
	global_load_dword v12, v[0:1], off
	v_lshlrev_b64 v[0:1], 4, v[40:41]
	v_mov_b32_e32 v2, s17
	v_add_co_u32_e32 v8, vcc, s16, v0
	v_addc_co_u32_e32 v9, vcc, v2, v1, vcc
	v_add_u32_e32 v0, s20, v40
	v_mov_b32_e32 v1, v41
	v_lshlrev_b64 v[0:1], 4, v[0:1]
	v_add_co_u32_e32 v10, vcc, s16, v0
	v_addc_co_u32_e32 v11, vcc, v2, v1, vcc
	global_load_dwordx4 v[4:7], v[8:9], off
	global_load_dwordx4 v[0:3], v[10:11], off
	s_waitcnt vmcnt(2)
	v_subrev_u32_e32 v8, s21, v12
	v_lshlrev_b32_e32 v9, 1, v8
.LBB9_15:                               ;   in Loop: Header=BB9_13 Depth=2
	s_or_b64 exec, exec, s[26:27]
	ds_write_b32 v57, v9
	s_waitcnt vmcnt(1)
	ds_write_b128 v58, v[4:7]
	s_waitcnt vmcnt(0)
	ds_write_b128 v58, v[0:3] offset:16
	s_waitcnt lgkmcnt(0)
	; wave barrier
	s_waitcnt lgkmcnt(0)
	s_and_saveexec_b64 s[26:27], s[4:5]
	s_cbranch_execz .LBB9_12
; %bb.16:                               ;   in Loop: Header=BB9_13 Depth=2
	ds_read_b128 v[18:21], v56
	ds_read_b128 v[24:27], v56 offset:16
	s_waitcnt lgkmcnt(1)
	v_ashrrev_i32_e32 v1, 31, v18
	v_mov_b32_e32 v0, v18
	v_lshlrev_b64 v[0:1], 4, v[0:1]
	v_add_co_u32_e32 v0, vcc, v60, v0
	v_ashrrev_i32_e32 v3, 31, v19
	v_mov_b32_e32 v2, v19
	v_addc_co_u32_e32 v1, vcc, v61, v1, vcc
	v_lshlrev_b64 v[2:3], 4, v[2:3]
	global_load_dwordx4 v[16:19], v[0:1], off
	global_load_dwordx4 v[12:15], v[0:1], off offset:16
	v_ashrrev_i32_e32 v5, 31, v20
	v_add_co_u32_e32 v0, vcc, v60, v2
	v_mov_b32_e32 v4, v20
	v_addc_co_u32_e32 v1, vcc, v61, v3, vcc
	v_lshlrev_b64 v[2:3], 4, v[4:5]
	v_add_co_u32_e32 v22, vcc, v60, v2
	v_ashrrev_i32_e32 v29, 31, v21
	v_mov_b32_e32 v28, v21
	v_addc_co_u32_e32 v23, vcc, v61, v3, vcc
	v_lshlrev_b64 v[28:29], 4, v[28:29]
	global_load_dwordx4 v[8:11], v[0:1], off
	global_load_dwordx4 v[4:7], v[0:1], off offset:16
	v_add_co_u32_e32 v66, vcc, v60, v28
	s_waitcnt lgkmcnt(0)
	v_ashrrev_i32_e32 v71, 31, v24
	v_mov_b32_e32 v70, v24
	v_addc_co_u32_e32 v67, vcc, v61, v29, vcc
	v_lshlrev_b64 v[70:71], 4, v[70:71]
	v_add_co_u32_e32 v74, vcc, v60, v70
	v_ashrrev_i32_e32 v79, 31, v25
	v_mov_b32_e32 v78, v25
	v_addc_co_u32_e32 v75, vcc, v61, v71, vcc
	v_lshlrev_b64 v[24:25], 4, v[78:79]
	global_load_dwordx4 v[0:3], v[22:23], off
	v_add_co_u32_e32 v24, vcc, v60, v24
	v_addc_co_u32_e32 v25, vcc, v61, v25, vcc
	global_load_dwordx4 v[78:81], v[24:25], off
	global_load_dwordx4 v[28:31], v[66:67], off
	global_load_dwordx4 v[82:85], v[24:25], off offset:16
	global_load_dwordx4 v[70:73], v[74:75], off
	v_ashrrev_i32_e32 v87, 31, v26
	global_load_dwordx4 v[20:23], v[22:23], off offset:16
	v_mov_b32_e32 v86, v26
	global_load_dwordx4 v[66:69], v[66:67], off offset:16
	v_lshlrev_b64 v[24:25], 4, v[86:87]
	global_load_dwordx4 v[74:77], v[74:75], off offset:16
	v_add_co_u32_e32 v24, vcc, v60, v24
	v_addc_co_u32_e32 v25, vcc, v61, v25, vcc
	global_load_dwordx4 v[86:89], v[24:25], off
	v_ashrrev_i32_e32 v91, 31, v27
	v_mov_b32_e32 v90, v27
	global_load_dwordx4 v[24:27], v[24:25], off offset:16
	v_lshlrev_b64 v[90:91], 4, v[90:91]
	v_add_co_u32_e32 v98, vcc, v60, v90
	v_addc_co_u32_e32 v99, vcc, v61, v91, vcc
	global_load_dwordx4 v[90:93], v[98:99], off
	global_load_dwordx4 v[94:97], v[98:99], off offset:16
	ds_read_b128 v[98:101], v59
	ds_read_b128 v[102:105], v59 offset:16
	ds_read_b128 v[106:109], v59 offset:48
	;; [unrolled: 1-line block ×5, first 2 shown]
	s_waitcnt vmcnt(15) lgkmcnt(5)
	v_fmac_f64_e32 v[52:53], v[98:99], v[16:17]
	v_fmac_f64_e32 v[48:49], v[100:101], v[16:17]
	v_fma_f64 v[16:17], -v[100:101], v[18:19], v[52:53]
	v_fmac_f64_e32 v[48:49], v[98:99], v[18:19]
	s_waitcnt vmcnt(14) lgkmcnt(4)
	v_fmac_f64_e32 v[16:17], v[102:103], v[12:13]
	v_fmac_f64_e32 v[48:49], v[104:105], v[12:13]
	v_fma_f64 v[12:13], -v[104:105], v[14:15], v[16:17]
	v_fmac_f64_e32 v[48:49], v[102:103], v[14:15]
	;; [unrolled: 5-line block ×5, first 2 shown]
	ds_read_b128 v[0:3], v59 offset:144
	s_waitcnt vmcnt(6) lgkmcnt(1)
	v_fmac_f64_e32 v[4:5], v[118:119], v[20:21]
	v_fma_f64 v[8:9], -v[120:121], v[22:23], v[4:5]
	ds_read_b128 v[4:7], v59 offset:160
	v_fmac_f64_e32 v[48:49], v[120:121], v[20:21]
	v_fmac_f64_e32 v[48:49], v[118:119], v[22:23]
	s_waitcnt lgkmcnt(1)
	v_fmac_f64_e32 v[8:9], v[0:1], v[28:29]
	v_fmac_f64_e32 v[48:49], v[2:3], v[28:29]
	v_fma_f64 v[8:9], -v[2:3], v[30:31], v[8:9]
	v_fmac_f64_e32 v[48:49], v[0:1], v[30:31]
	ds_read_b128 v[0:3], v59 offset:192
	s_waitcnt vmcnt(5) lgkmcnt(1)
	v_fmac_f64_e32 v[8:9], v[4:5], v[66:67]
	v_fmac_f64_e32 v[48:49], v[6:7], v[66:67]
	v_fma_f64 v[8:9], -v[6:7], v[68:69], v[8:9]
	v_fmac_f64_e32 v[48:49], v[4:5], v[68:69]
	ds_read_b128 v[4:7], v59 offset:208
	s_waitcnt lgkmcnt(1)
	v_fmac_f64_e32 v[8:9], v[0:1], v[70:71]
	v_fmac_f64_e32 v[48:49], v[2:3], v[70:71]
	v_fma_f64 v[8:9], -v[2:3], v[72:73], v[8:9]
	v_fmac_f64_e32 v[48:49], v[0:1], v[72:73]
	ds_read_b128 v[0:3], v59 offset:240
	s_waitcnt vmcnt(4) lgkmcnt(1)
	v_fmac_f64_e32 v[8:9], v[4:5], v[74:75]
	v_fmac_f64_e32 v[48:49], v[6:7], v[74:75]
	v_fma_f64 v[8:9], -v[6:7], v[76:77], v[8:9]
	v_fmac_f64_e32 v[48:49], v[4:5], v[76:77]
	ds_read_b128 v[4:7], v59 offset:256
	s_waitcnt lgkmcnt(1)
	v_fmac_f64_e32 v[8:9], v[0:1], v[78:79]
	v_fmac_f64_e32 v[48:49], v[2:3], v[78:79]
	v_fma_f64 v[8:9], -v[2:3], v[80:81], v[8:9]
	v_fmac_f64_e32 v[48:49], v[0:1], v[80:81]
	ds_read_b128 v[0:3], v59 offset:288
	s_waitcnt lgkmcnt(1)
	v_fmac_f64_e32 v[8:9], v[4:5], v[82:83]
	v_fmac_f64_e32 v[48:49], v[6:7], v[82:83]
	v_fma_f64 v[8:9], -v[6:7], v[84:85], v[8:9]
	v_fmac_f64_e32 v[48:49], v[4:5], v[84:85]
	ds_read_b128 v[4:7], v59 offset:304
	s_waitcnt vmcnt(3) lgkmcnt(1)
	v_fmac_f64_e32 v[8:9], v[0:1], v[86:87]
	v_fmac_f64_e32 v[48:49], v[2:3], v[86:87]
	v_fma_f64 v[8:9], -v[2:3], v[88:89], v[8:9]
	v_fmac_f64_e32 v[48:49], v[0:1], v[88:89]
	ds_read_b128 v[0:3], v59 offset:336
	s_waitcnt vmcnt(2) lgkmcnt(1)
	;; [unrolled: 6-line block ×3, first 2 shown]
	v_fmac_f64_e32 v[8:9], v[0:1], v[90:91]
	v_fmac_f64_e32 v[48:49], v[2:3], v[90:91]
	v_fma_f64 v[8:9], -v[2:3], v[92:93], v[8:9]
	v_fmac_f64_e32 v[48:49], v[0:1], v[92:93]
	s_waitcnt vmcnt(0) lgkmcnt(0)
	v_fmac_f64_e32 v[8:9], v[4:5], v[94:95]
	v_fmac_f64_e32 v[48:49], v[6:7], v[94:95]
	v_fma_f64 v[52:53], -v[6:7], v[96:97], v[8:9]
	v_fmac_f64_e32 v[48:49], v[4:5], v[96:97]
	s_branch .LBB9_12
.LBB9_17:                               ;   in Loop: Header=BB9_10 Depth=1
	s_or_b64 exec, exec, s[22:23]
.LBB9_18:                               ;   in Loop: Header=BB9_10 Depth=1
	s_or_b64 exec, exec, s[18:19]
	s_and_saveexec_b64 s[18:19], s[4:5]
	s_cbranch_execz .LBB9_9
; %bb.19:                               ;   in Loop: Header=BB9_10 Depth=1
	v_mul_f64 v[0:1], v[48:49], -v[34:35]
	v_mul_f64 v[2:3], v[32:33], v[48:49]
	v_fmac_f64_e32 v[0:1], v[32:33], v[52:53]
	v_fmac_f64_e32 v[2:3], v[34:35], v[52:53]
	s_and_saveexec_b64 s[22:23], s[8:9]
	s_xor_b64 s[22:23], exec, s[22:23]
	s_cbranch_execz .LBB9_24
; %bb.20:                               ;   in Loop: Header=BB9_10 Depth=1
	s_mov_b64 s[26:27], -1
	s_and_b64 vcc, exec, s[10:11]
	s_cbranch_vccz .LBB9_22
; %bb.21:                               ;   in Loop: Header=BB9_10 Depth=1
	global_load_dwordx4 v[4:7], v[44:45], off
	s_mov_b64 s[26:27], 0
	s_waitcnt vmcnt(0)
	v_fma_f64 v[8:9], v[36:37], v[4:5], v[0:1]
	v_fma_f64 v[10:11], v[38:39], v[4:5], v[2:3]
	v_fma_f64 v[8:9], -v[38:39], v[6:7], v[8:9]
	v_fmac_f64_e32 v[10:11], v[36:37], v[6:7]
	global_store_dwordx4 v[44:45], v[8:11], off
.LBB9_22:                               ;   in Loop: Header=BB9_10 Depth=1
	s_andn2_b64 vcc, exec, s[26:27]
	s_cbranch_vccnz .LBB9_24
; %bb.23:                               ;   in Loop: Header=BB9_10 Depth=1
	global_load_dwordx4 v[4:7], v[46:47], off
	s_waitcnt vmcnt(0)
	v_fmac_f64_e32 v[0:1], v[36:37], v[4:5]
	v_fmac_f64_e32 v[2:3], v[38:39], v[4:5]
	v_fma_f64 v[0:1], -v[38:39], v[6:7], v[0:1]
	v_fmac_f64_e32 v[2:3], v[36:37], v[6:7]
	global_store_dwordx4 v[46:47], v[0:3], off
                                        ; implicit-def: $vgpr0_vgpr1
.LBB9_24:                               ;   in Loop: Header=BB9_10 Depth=1
	s_andn2_saveexec_b64 s[22:23], s[22:23]
	s_cbranch_execz .LBB9_9
; %bb.25:                               ;   in Loop: Header=BB9_10 Depth=1
	s_mov_b64 s[22:23], -1
	s_and_b64 vcc, exec, s[10:11]
	s_cbranch_vccz .LBB9_27
; %bb.26:                               ;   in Loop: Header=BB9_10 Depth=1
	global_store_dwordx4 v[44:45], v[0:3], off
	s_mov_b64 s[22:23], 0
.LBB9_27:                               ;   in Loop: Header=BB9_10 Depth=1
	s_andn2_b64 vcc, exec, s[22:23]
	s_cbranch_vccnz .LBB9_9
; %bb.28:                               ;   in Loop: Header=BB9_10 Depth=1
	global_store_dwordx4 v[46:47], v[0:3], off
	s_branch .LBB9_9
.LBB9_29:
	s_endpgm
	.section	.rodata,"a",@progbits
	.p2align	6, 0x0
	.amdhsa_kernel _ZN9rocsparseL29bsrmmnn_small_blockdim_kernelILj64ELj8ELj2Eii21rocsparse_complex_numIdES2_S2_S2_EEv20rocsparse_direction_T3_S4_llNS_24const_host_device_scalarIT7_EEPKT2_PKS4_PKT4_PKT5_llS7_PT6_ll16rocsparse_order_21rocsparse_index_base_b
		.amdhsa_group_segment_fixed_size 3328
		.amdhsa_private_segment_fixed_size 24
		.amdhsa_kernarg_size 408
		.amdhsa_user_sgpr_count 8
		.amdhsa_user_sgpr_private_segment_buffer 1
		.amdhsa_user_sgpr_dispatch_ptr 0
		.amdhsa_user_sgpr_queue_ptr 0
		.amdhsa_user_sgpr_kernarg_segment_ptr 1
		.amdhsa_user_sgpr_dispatch_id 0
		.amdhsa_user_sgpr_flat_scratch_init 1
		.amdhsa_user_sgpr_kernarg_preload_length 0
		.amdhsa_user_sgpr_kernarg_preload_offset 0
		.amdhsa_user_sgpr_private_segment_size 0
		.amdhsa_uses_dynamic_stack 0
		.amdhsa_system_sgpr_private_segment_wavefront_offset 1
		.amdhsa_system_sgpr_workgroup_id_x 1
		.amdhsa_system_sgpr_workgroup_id_y 1
		.amdhsa_system_sgpr_workgroup_id_z 0
		.amdhsa_system_sgpr_workgroup_info 0
		.amdhsa_system_vgpr_workitem_id 0
		.amdhsa_next_free_vgpr 122
		.amdhsa_next_free_sgpr 32
		.amdhsa_accum_offset 124
		.amdhsa_reserve_vcc 1
		.amdhsa_reserve_flat_scratch 1
		.amdhsa_float_round_mode_32 0
		.amdhsa_float_round_mode_16_64 0
		.amdhsa_float_denorm_mode_32 3
		.amdhsa_float_denorm_mode_16_64 3
		.amdhsa_dx10_clamp 1
		.amdhsa_ieee_mode 1
		.amdhsa_fp16_overflow 0
		.amdhsa_tg_split 0
		.amdhsa_exception_fp_ieee_invalid_op 0
		.amdhsa_exception_fp_denorm_src 0
		.amdhsa_exception_fp_ieee_div_zero 0
		.amdhsa_exception_fp_ieee_overflow 0
		.amdhsa_exception_fp_ieee_underflow 0
		.amdhsa_exception_fp_ieee_inexact 0
		.amdhsa_exception_int_div_zero 0
	.end_amdhsa_kernel
	.section	.text._ZN9rocsparseL29bsrmmnn_small_blockdim_kernelILj64ELj8ELj2Eii21rocsparse_complex_numIdES2_S2_S2_EEv20rocsparse_direction_T3_S4_llNS_24const_host_device_scalarIT7_EEPKT2_PKS4_PKT4_PKT5_llS7_PT6_ll16rocsparse_order_21rocsparse_index_base_b,"axG",@progbits,_ZN9rocsparseL29bsrmmnn_small_blockdim_kernelILj64ELj8ELj2Eii21rocsparse_complex_numIdES2_S2_S2_EEv20rocsparse_direction_T3_S4_llNS_24const_host_device_scalarIT7_EEPKT2_PKS4_PKT4_PKT5_llS7_PT6_ll16rocsparse_order_21rocsparse_index_base_b,comdat
.Lfunc_end9:
	.size	_ZN9rocsparseL29bsrmmnn_small_blockdim_kernelILj64ELj8ELj2Eii21rocsparse_complex_numIdES2_S2_S2_EEv20rocsparse_direction_T3_S4_llNS_24const_host_device_scalarIT7_EEPKT2_PKS4_PKT4_PKT5_llS7_PT6_ll16rocsparse_order_21rocsparse_index_base_b, .Lfunc_end9-_ZN9rocsparseL29bsrmmnn_small_blockdim_kernelILj64ELj8ELj2Eii21rocsparse_complex_numIdES2_S2_S2_EEv20rocsparse_direction_T3_S4_llNS_24const_host_device_scalarIT7_EEPKT2_PKS4_PKT4_PKT5_llS7_PT6_ll16rocsparse_order_21rocsparse_index_base_b
                                        ; -- End function
	.section	.AMDGPU.csdata,"",@progbits
; Kernel info:
; codeLenInByte = 2216
; NumSgprs: 38
; NumVgprs: 122
; NumAgprs: 0
; TotalNumVgprs: 122
; ScratchSize: 24
; MemoryBound: 1
; FloatMode: 240
; IeeeMode: 1
; LDSByteSize: 3328 bytes/workgroup (compile time only)
; SGPRBlocks: 4
; VGPRBlocks: 15
; NumSGPRsForWavesPerEU: 38
; NumVGPRsForWavesPerEU: 122
; AccumOffset: 124
; Occupancy: 4
; WaveLimiterHint : 1
; COMPUTE_PGM_RSRC2:SCRATCH_EN: 1
; COMPUTE_PGM_RSRC2:USER_SGPR: 8
; COMPUTE_PGM_RSRC2:TRAP_HANDLER: 0
; COMPUTE_PGM_RSRC2:TGID_X_EN: 1
; COMPUTE_PGM_RSRC2:TGID_Y_EN: 1
; COMPUTE_PGM_RSRC2:TGID_Z_EN: 0
; COMPUTE_PGM_RSRC2:TIDIG_COMP_CNT: 0
; COMPUTE_PGM_RSRC3_GFX90A:ACCUM_OFFSET: 30
; COMPUTE_PGM_RSRC3_GFX90A:TG_SPLIT: 0
	.section	.text._ZN9rocsparseL29bsrmmnn_small_blockdim_kernelILj64ELj8ELj2Eli21rocsparse_complex_numIdES2_S2_S2_EEv20rocsparse_direction_T3_S4_llNS_24const_host_device_scalarIT7_EEPKT2_PKS4_PKT4_PKT5_llS7_PT6_ll16rocsparse_order_21rocsparse_index_base_b,"axG",@progbits,_ZN9rocsparseL29bsrmmnn_small_blockdim_kernelILj64ELj8ELj2Eli21rocsparse_complex_numIdES2_S2_S2_EEv20rocsparse_direction_T3_S4_llNS_24const_host_device_scalarIT7_EEPKT2_PKS4_PKT4_PKT5_llS7_PT6_ll16rocsparse_order_21rocsparse_index_base_b,comdat
	.globl	_ZN9rocsparseL29bsrmmnn_small_blockdim_kernelILj64ELj8ELj2Eli21rocsparse_complex_numIdES2_S2_S2_EEv20rocsparse_direction_T3_S4_llNS_24const_host_device_scalarIT7_EEPKT2_PKS4_PKT4_PKT5_llS7_PT6_ll16rocsparse_order_21rocsparse_index_base_b ; -- Begin function _ZN9rocsparseL29bsrmmnn_small_blockdim_kernelILj64ELj8ELj2Eli21rocsparse_complex_numIdES2_S2_S2_EEv20rocsparse_direction_T3_S4_llNS_24const_host_device_scalarIT7_EEPKT2_PKS4_PKT4_PKT5_llS7_PT6_ll16rocsparse_order_21rocsparse_index_base_b
	.p2align	8
	.type	_ZN9rocsparseL29bsrmmnn_small_blockdim_kernelILj64ELj8ELj2Eli21rocsparse_complex_numIdES2_S2_S2_EEv20rocsparse_direction_T3_S4_llNS_24const_host_device_scalarIT7_EEPKT2_PKS4_PKT4_PKT5_llS7_PT6_ll16rocsparse_order_21rocsparse_index_base_b,@function
_ZN9rocsparseL29bsrmmnn_small_blockdim_kernelILj64ELj8ELj2Eli21rocsparse_complex_numIdES2_S2_S2_EEv20rocsparse_direction_T3_S4_llNS_24const_host_device_scalarIT7_EEPKT2_PKS4_PKT4_PKT5_llS7_PT6_ll16rocsparse_order_21rocsparse_index_base_b: ; @_ZN9rocsparseL29bsrmmnn_small_blockdim_kernelILj64ELj8ELj2Eli21rocsparse_complex_numIdES2_S2_S2_EEv20rocsparse_direction_T3_S4_llNS_24const_host_device_scalarIT7_EEPKT2_PKS4_PKT4_PKT5_llS7_PT6_ll16rocsparse_order_21rocsparse_index_base_b
; %bb.0:
	s_add_u32 flat_scratch_lo, s6, s10
	s_load_dwordx4 s[20:23], s[4:5], 0x88
	s_load_dwordx4 s[16:19], s[4:5], 0x20
	s_addc_u32 flat_scratch_hi, s7, 0
	s_add_u32 s0, s0, s10
	s_load_dwordx4 s[12:15], s[4:5], 0x60
	s_addc_u32 s1, s1, 0
	s_waitcnt lgkmcnt(0)
	s_bitcmp1_b32 s22, 0
	v_mov_b32_e32 v1, 0
	v_mov_b32_e32 v3, s16
	s_cselect_b64 s[6:7], -1, 0
	v_cndmask_b32_e64 v2, v3, v1, s[6:7]
	v_mov_b32_e32 v1, s17
	s_mov_b64 s[10:11], src_private_base
	s_and_b64 vcc, s[6:7], exec
	buffer_store_dword v1, off, s[0:3], 0 offset:4
	buffer_store_dword v3, off, s[0:3], 0
	v_mov_b32_e32 v1, s13
	s_cselect_b32 s10, s11, s17
	buffer_store_dword v1, off, s[0:3], 0 offset:12
	v_mov_b32_e32 v1, s12
	buffer_store_dword v1, off, s[0:3], 0 offset:8
	v_mov_b32_e32 v3, s10
	flat_load_dwordx2 v[32:33], v[2:3]
	s_xor_b64 s[22:23], s[6:7], -1
	v_pk_mov_b32 v[34:35], s[18:19], s[18:19] op_sel:[0,1]
	s_cbranch_vccnz .LBB10_2
; %bb.1:
	v_pk_mov_b32 v[2:3], s[16:17], s[16:17] op_sel:[0,1]
	flat_load_dwordx2 v[34:35], v[2:3] offset:8
.LBB10_2:
	s_and_b64 s[16:17], s[6:7], exec
	s_cselect_b32 s10, s11, s13
	v_mov_b32_e32 v1, 8
	v_mov_b32_e32 v2, s12
	v_cndmask_b32_e64 v2, v2, v1, s[6:7]
	v_mov_b32_e32 v3, s10
	flat_load_dwordx2 v[36:37], v[2:3]
	s_andn2_b64 vcc, exec, s[22:23]
	v_pk_mov_b32 v[38:39], s[14:15], s[14:15] op_sel:[0,1]
	s_cbranch_vccnz .LBB10_4
; %bb.3:
	v_pk_mov_b32 v[2:3], s[12:13], s[12:13] op_sel:[0,1]
	flat_load_dwordx2 v[38:39], v[2:3] offset:8
.LBB10_4:
	s_waitcnt vmcnt(0) lgkmcnt(0)
	v_cmp_eq_f64_e32 vcc, 0, v[32:33]
	v_cmp_eq_f64_e64 s[6:7], 0, v[34:35]
	s_and_b64 s[12:13], vcc, s[6:7]
	s_mov_b64 s[6:7], -1
	s_and_saveexec_b64 s[10:11], s[12:13]
; %bb.5:
	v_cmp_neq_f64_e32 vcc, 1.0, v[36:37]
	v_cmp_neq_f64_e64 s[6:7], 0, v[38:39]
	s_or_b64 s[6:7], vcc, s[6:7]
	s_orn2_b64 s[6:7], s[6:7], exec
; %bb.6:
	s_or_b64 exec, exec, s[10:11]
	s_and_saveexec_b64 s[10:11], s[6:7]
	s_cbranch_execz .LBB10_29
; %bb.7:
	s_load_dword s6, s[4:5], 0x98
	s_load_dwordx4 s[24:27], s[4:5], 0x0
	s_add_u32 s7, s4, 0x98
	s_addc_u32 s11, s5, 0
	v_mov_b32_e32 v41, 0
	s_waitcnt lgkmcnt(0)
	s_cmp_lt_u32 s8, s6
	s_cselect_b32 s10, 12, 18
	s_add_u32 s10, s7, s10
	s_addc_u32 s11, s11, 0
	global_load_ushort v2, v41, s[10:11]
	s_mov_b32 s27, 0
	s_waitcnt vmcnt(0)
	v_mul_lo_u32 v1, s8, v2
	v_add_u32_e32 v1, v1, v0
	v_lshrrev_b32_e32 v40, 4, v1
	v_cmp_gt_i32_e32 vcc, s25, v40
	s_and_b64 exec, exec, vcc
	s_cbranch_execz .LBB10_29
; %bb.8:
	v_mul_lo_u32 v2, s6, v2
	s_load_dwordx4 s[28:31], s[4:5], 0x70
	s_load_dwordx2 s[6:7], s[4:5], 0x50
	v_and_b32_e32 v42, 7, v1
	v_lshrrev_b32_e32 v43, 4, v2
	v_lshl_or_b32 v2, s9, 3, v42
	v_ashrrev_i32_e32 v3, 31, v2
	v_lshlrev_b64 v[4:5], 4, v[2:3]
	s_load_dwordx8 s[12:19], s[4:5], 0x30
	s_waitcnt lgkmcnt(0)
	v_mov_b32_e32 v8, s29
	v_add_co_u32_e32 v9, vcc, s28, v4
	v_lshrrev_b32_e32 v6, 3, v0
	v_addc_co_u32_e32 v10, vcc, v8, v5, vcc
	v_lshrrev_b32_e32 v0, 3, v1
	v_bfe_u32 v11, v1, 3, 1
	v_mul_lo_u32 v1, v3, s6
	v_mul_lo_u32 v7, v2, s7
	v_mad_u64_u32 v[4:5], s[4:5], v2, s6, 0
	v_add3_u32 v5, v5, v7, v1
	v_mov_b32_e32 v1, 0xc00
	v_lshl_or_b32 v64, v6, 5, v1
	v_cmp_neq_f64_e32 vcc, 0, v[36:37]
	v_cmp_neq_f64_e64 s[4:5], 0, v[38:39]
	v_mul_u32_u24_e32 v1, 3, v42
	s_or_b64 s[10:11], vcc, s[4:5]
	v_lshlrev_b32_e32 v1, 4, v1
	s_movk_i32 s4, 0x180
	v_lshlrev_b64 v[4:5], 4, v[4:5]
	v_mad_u32_u24 v66, v6, s4, v1
	v_mov_b32_e32 v1, s19
	v_add_co_u32_e32 v68, vcc, s18, v4
	v_addc_co_u32_e32 v69, vcc, v1, v5, vcc
	v_mad_u64_u32 v[4:5], s[6:7], v0, s30, 0
	v_mul_u32_u24_e32 v67, 0x180, v6
	v_mov_b32_e32 v6, v5
	v_mad_u64_u32 v[6:7], s[6:7], v0, s31, v[6:7]
	v_mov_b32_e32 v5, v6
	v_lshlrev_b64 v[4:5], 4, v[4:5]
	v_add_co_u32_e32 v44, vcc, v9, v4
	v_cmp_gt_i32_e64 s[4:5], s26, v2
	v_addc_co_u32_e32 v45, vcc, v10, v5, vcc
	v_mul_lo_u32 v4, v3, s30
	v_mul_lo_u32 v5, v2, s31
	v_mad_u64_u32 v[2:3], s[6:7], v2, s30, 0
	v_add3_u32 v3, v3, v5, v4
	s_cmp_lg_u32 s20, 1
	v_lshlrev_b64 v[2:3], 4, v[2:3]
	s_cselect_b64 s[22:23], -1, 0
	s_cmp_eq_u32 s24, 0
	v_mov_b32_e32 v1, v41
	v_add_co_u32_e32 v2, vcc, s28, v2
	v_addc_co_u32_e32 v3, vcc, v8, v3, vcc
	v_lshlrev_b64 v[0:1], 4, v[0:1]
	s_cselect_b64 s[6:7], -1, 0
	v_add_co_u32_e32 v46, vcc, v2, v0
	v_cndmask_b32_e64 v0, 0, 1, s[6:7]
	s_and_b64 s[6:7], s[6:7], exec
	v_addc_co_u32_e32 v47, vcc, v3, v1, vcc
	s_cselect_b32 s18, 1, 2
	v_lshlrev_b32_e32 v0, v0, v11
	s_add_u32 s20, s16, 8
	v_subrev_co_u32_e32 v70, vcc, s21, v42
	v_lshlrev_b32_e32 v1, 4, v0
	s_addc_u32 s24, s17, 0
	v_subb_co_u32_e64 v71, s[6:7], 0, 0, vcc
	v_mov_b32_e32 v2, s24
	v_add_co_u32_e32 v72, vcc, s20, v1
	v_addc_co_u32_e32 v73, vcc, 0, v2, vcc
	v_add_co_u32_e32 v74, vcc, s18, v0
	s_mov_b32 s29, s21
	v_lshl_or_b32 v65, v42, 2, v64
	s_mov_b64 s[8:9], 0
	v_addc_co_u32_e64 v75, s[6:7], 0, 0, vcc
	v_mov_b32_e32 v76, s13
	s_branch .LBB10_10
.LBB10_9:                               ;   in Loop: Header=BB10_10 Depth=1
	s_or_b64 exec, exec, s[6:7]
	v_add_u32_e32 v40, v40, v43
	v_cmp_le_i32_e32 vcc, s25, v40
	s_or_b64 s[8:9], vcc, s[8:9]
	s_andn2_b64 exec, exec, s[8:9]
	s_cbranch_execz .LBB10_29
.LBB10_10:                              ; =>This Loop Header: Depth=1
                                        ;     Child Loop BB10_13 Depth 2
	v_lshlrev_b64 v[0:1], 3, v[40:41]
	v_add_co_u32_e32 v0, vcc, s12, v0
	v_addc_co_u32_e32 v1, vcc, v76, v1, vcc
	global_load_dwordx4 v[0:3], v[0:1], off
	v_pk_mov_b32 v[52:53], 0, 0
	v_pk_mov_b32 v[62:63], v[52:53], v[52:53] op_sel:[0,1]
	s_waitcnt vmcnt(0)
	v_cmp_lt_i64_e32 vcc, v[0:1], v[2:3]
	s_and_saveexec_b64 s[16:17], vcc
	s_cbranch_execz .LBB10_18
; %bb.11:                               ;   in Loop: Header=BB10_10 Depth=1
	v_mov_b32_e32 v4, s27
	v_subrev_co_u32_e32 v48, vcc, s29, v2
	v_subb_co_u32_e32 v49, vcc, v3, v4, vcc
	v_subrev_co_u32_e32 v50, vcc, s29, v0
	v_subb_co_u32_e32 v51, vcc, v1, v4, vcc
	v_add_co_u32_e32 v0, vcc, v70, v0
	v_addc_co_u32_e32 v1, vcc, v71, v1, vcc
	v_lshlrev_b64 v[2:3], 2, v[0:1]
	v_mov_b32_e32 v4, s15
	v_add_co_u32_e32 v54, vcc, s14, v2
	v_addc_co_u32_e32 v55, vcc, v4, v3, vcc
	v_lshlrev_b64 v[0:1], 6, v[0:1]
	v_add_co_u32_e32 v56, vcc, v72, v0
	v_addc_co_u32_e32 v57, vcc, v73, v1, vcc
	v_add_co_u32_e32 v0, vcc, v74, v2
	v_addc_co_u32_e32 v1, vcc, v75, v3, vcc
	v_lshlrev_b64 v[0:1], 4, v[0:1]
	v_mov_b32_e32 v2, s24
	v_add_co_u32_e32 v58, vcc, s20, v0
	v_pk_mov_b32 v[60:61], 0, 0
	v_addc_co_u32_e32 v59, vcc, v2, v1, vcc
	s_mov_b64 s[18:19], 0
	v_pk_mov_b32 v[52:53], v[60:61], v[60:61] op_sel:[0,1]
	v_pk_mov_b32 v[62:63], v[60:61], v[60:61] op_sel:[0,1]
	s_branch .LBB10_13
.LBB10_12:                              ;   in Loop: Header=BB10_13 Depth=2
	s_or_b64 exec, exec, s[6:7]
	v_add_co_u32_e32 v50, vcc, 8, v50
	v_addc_co_u32_e32 v51, vcc, 0, v51, vcc
	v_add_co_u32_e32 v54, vcc, 32, v54
	v_addc_co_u32_e32 v55, vcc, 0, v55, vcc
	;; [unrolled: 2-line block ×3, first 2 shown]
	v_add_co_u32_e32 v58, vcc, 0x200, v58
	v_cmp_ge_i64_e64 s[6:7], v[50:51], v[48:49]
	s_or_b64 s[18:19], s[6:7], s[18:19]
	v_addc_co_u32_e32 v59, vcc, 0, v59, vcc
	s_andn2_b64 exec, exec, s[18:19]
	s_cbranch_execz .LBB10_17
.LBB10_13:                              ;   Parent Loop BB10_10 Depth=1
                                        ; =>  This Inner Loop Header: Depth=2
	v_add_co_u32_e32 v0, vcc, v42, v50
	v_addc_co_u32_e32 v1, vcc, 0, v51, vcc
	v_cmp_lt_i64_e32 vcc, v[0:1], v[48:49]
	v_mov_b32_e32 v8, 0
	v_pk_mov_b32 v[0:1], v[60:61], v[60:61] op_sel:[0,1]
	v_pk_mov_b32 v[2:3], v[60:61], v[60:61] op_sel:[0,1]
	;; [unrolled: 1-line block ×4, first 2 shown]
	s_and_saveexec_b64 s[6:7], vcc
	s_cbranch_execz .LBB10_15
; %bb.14:                               ;   in Loop: Header=BB10_13 Depth=2
	global_load_dword v8, v[54:55], off
	global_load_dwordx4 v[0:3], v[56:57], off offset:-8
	global_load_dwordx4 v[4:7], v[58:59], off offset:-8
	s_waitcnt vmcnt(2)
	v_subrev_u32_e32 v8, s21, v8
	v_lshlrev_b32_e32 v8, 1, v8
.LBB10_15:                              ;   in Loop: Header=BB10_13 Depth=2
	s_or_b64 exec, exec, s[6:7]
	ds_write_b32 v65, v8
	s_waitcnt vmcnt(1)
	ds_write_b128 v66, v[0:3]
	s_waitcnt vmcnt(0)
	ds_write_b128 v66, v[4:7] offset:16
	s_waitcnt lgkmcnt(0)
	; wave barrier
	s_waitcnt lgkmcnt(0)
	s_and_saveexec_b64 s[6:7], s[4:5]
	s_cbranch_execz .LBB10_12
; %bb.16:                               ;   in Loop: Header=BB10_13 Depth=2
	ds_read_b128 v[20:23], v64
	ds_read_b128 v[28:31], v64 offset:16
	s_waitcnt lgkmcnt(1)
	v_ashrrev_i32_e32 v1, 31, v20
	v_mov_b32_e32 v0, v20
	v_lshlrev_b64 v[0:1], 4, v[0:1]
	v_add_co_u32_e32 v0, vcc, v68, v0
	v_ashrrev_i32_e32 v3, 31, v21
	v_mov_b32_e32 v2, v21
	v_addc_co_u32_e32 v1, vcc, v69, v1, vcc
	v_lshlrev_b64 v[2:3], 4, v[2:3]
	global_load_dwordx4 v[16:19], v[0:1], off
	global_load_dwordx4 v[12:15], v[0:1], off offset:16
	v_ashrrev_i32_e32 v5, 31, v22
	v_add_co_u32_e32 v0, vcc, v68, v2
	v_mov_b32_e32 v4, v22
	v_addc_co_u32_e32 v1, vcc, v69, v3, vcc
	v_lshlrev_b64 v[2:3], 4, v[4:5]
	v_add_co_u32_e32 v20, vcc, v68, v2
	v_ashrrev_i32_e32 v25, 31, v23
	v_mov_b32_e32 v24, v23
	v_addc_co_u32_e32 v21, vcc, v69, v3, vcc
	v_lshlrev_b64 v[24:25], 4, v[24:25]
	global_load_dwordx4 v[8:11], v[0:1], off
	global_load_dwordx4 v[4:7], v[0:1], off offset:16
	v_add_co_u32_e32 v78, vcc, v68, v24
	s_waitcnt lgkmcnt(0)
	v_ashrrev_i32_e32 v83, 31, v28
	v_mov_b32_e32 v82, v28
	v_addc_co_u32_e32 v79, vcc, v69, v25, vcc
	v_lshlrev_b64 v[82:83], 4, v[82:83]
	v_add_co_u32_e32 v86, vcc, v68, v82
	v_ashrrev_i32_e32 v91, 31, v29
	v_mov_b32_e32 v90, v29
	v_addc_co_u32_e32 v87, vcc, v69, v83, vcc
	v_lshlrev_b64 v[28:29], 4, v[90:91]
	global_load_dwordx4 v[0:3], v[20:21], off
	v_add_co_u32_e32 v28, vcc, v68, v28
	v_addc_co_u32_e32 v29, vcc, v69, v29, vcc
	global_load_dwordx4 v[90:93], v[28:29], off
	global_load_dwordx4 v[24:27], v[78:79], off
	global_load_dwordx4 v[94:97], v[28:29], off offset:16
	global_load_dwordx4 v[82:85], v[86:87], off
	v_ashrrev_i32_e32 v99, 31, v30
	global_load_dwordx4 v[20:23], v[20:21], off offset:16
	v_mov_b32_e32 v98, v30
	global_load_dwordx4 v[78:81], v[78:79], off offset:16
	v_lshlrev_b64 v[28:29], 4, v[98:99]
	global_load_dwordx4 v[86:89], v[86:87], off offset:16
	v_add_co_u32_e32 v28, vcc, v68, v28
	v_addc_co_u32_e32 v29, vcc, v69, v29, vcc
	global_load_dwordx4 v[98:101], v[28:29], off
	v_ashrrev_i32_e32 v103, 31, v31
	v_mov_b32_e32 v102, v31
	global_load_dwordx4 v[28:31], v[28:29], off offset:16
	v_lshlrev_b64 v[102:103], 4, v[102:103]
	v_add_co_u32_e32 v110, vcc, v68, v102
	v_addc_co_u32_e32 v111, vcc, v69, v103, vcc
	global_load_dwordx4 v[102:105], v[110:111], off
	global_load_dwordx4 v[106:109], v[110:111], off offset:16
	ds_read_b128 v[110:113], v67
	ds_read_b128 v[114:117], v67 offset:16
	ds_read_b128 v[118:121], v67 offset:48
	s_waitcnt vmcnt(15) lgkmcnt(2)
	v_fmac_f64_e32 v[62:63], v[110:111], v[16:17]
	v_fmac_f64_e32 v[52:53], v[112:113], v[16:17]
	v_fma_f64 v[62:63], -v[112:113], v[18:19], v[62:63]
	v_fmac_f64_e32 v[52:53], v[110:111], v[18:19]
	ds_read_b128 v[16:19], v67 offset:64
	ds_read_b128 v[110:113], v67 offset:96
	s_waitcnt vmcnt(14) lgkmcnt(3)
	v_fmac_f64_e32 v[62:63], v[114:115], v[12:13]
	v_fmac_f64_e32 v[52:53], v[116:117], v[12:13]
	v_fma_f64 v[62:63], -v[116:117], v[14:15], v[62:63]
	v_fmac_f64_e32 v[52:53], v[114:115], v[14:15]
	ds_read_b128 v[12:15], v67 offset:112
	s_waitcnt vmcnt(13) lgkmcnt(3)
	v_fmac_f64_e32 v[62:63], v[118:119], v[8:9]
	v_fmac_f64_e32 v[52:53], v[120:121], v[8:9]
	v_fma_f64 v[8:9], -v[120:121], v[10:11], v[62:63]
	v_fmac_f64_e32 v[52:53], v[118:119], v[10:11]
	s_waitcnt vmcnt(12) lgkmcnt(2)
	v_fmac_f64_e32 v[8:9], v[16:17], v[4:5]
	v_fmac_f64_e32 v[52:53], v[18:19], v[4:5]
	v_fma_f64 v[4:5], -v[18:19], v[6:7], v[8:9]
	v_fmac_f64_e32 v[52:53], v[16:17], v[6:7]
	;; [unrolled: 5-line block ×3, first 2 shown]
	ds_read_b128 v[0:3], v67 offset:144
	s_waitcnt vmcnt(6) lgkmcnt(1)
	v_fmac_f64_e32 v[4:5], v[12:13], v[20:21]
	v_fma_f64 v[8:9], -v[14:15], v[22:23], v[4:5]
	ds_read_b128 v[4:7], v67 offset:160
	v_fmac_f64_e32 v[52:53], v[14:15], v[20:21]
	v_fmac_f64_e32 v[52:53], v[12:13], v[22:23]
	s_waitcnt lgkmcnt(1)
	v_fmac_f64_e32 v[8:9], v[0:1], v[24:25]
	v_fmac_f64_e32 v[52:53], v[2:3], v[24:25]
	v_fma_f64 v[8:9], -v[2:3], v[26:27], v[8:9]
	v_fmac_f64_e32 v[52:53], v[0:1], v[26:27]
	ds_read_b128 v[0:3], v67 offset:192
	s_waitcnt vmcnt(5) lgkmcnt(1)
	v_fmac_f64_e32 v[8:9], v[4:5], v[78:79]
	v_fmac_f64_e32 v[52:53], v[6:7], v[78:79]
	v_fma_f64 v[8:9], -v[6:7], v[80:81], v[8:9]
	v_fmac_f64_e32 v[52:53], v[4:5], v[80:81]
	ds_read_b128 v[4:7], v67 offset:208
	s_waitcnt lgkmcnt(1)
	v_fmac_f64_e32 v[8:9], v[0:1], v[82:83]
	v_fmac_f64_e32 v[52:53], v[2:3], v[82:83]
	v_fma_f64 v[8:9], -v[2:3], v[84:85], v[8:9]
	v_fmac_f64_e32 v[52:53], v[0:1], v[84:85]
	ds_read_b128 v[0:3], v67 offset:240
	s_waitcnt vmcnt(4) lgkmcnt(1)
	v_fmac_f64_e32 v[8:9], v[4:5], v[86:87]
	v_fmac_f64_e32 v[52:53], v[6:7], v[86:87]
	v_fma_f64 v[8:9], -v[6:7], v[88:89], v[8:9]
	v_fmac_f64_e32 v[52:53], v[4:5], v[88:89]
	ds_read_b128 v[4:7], v67 offset:256
	s_waitcnt lgkmcnt(1)
	v_fmac_f64_e32 v[8:9], v[0:1], v[90:91]
	v_fmac_f64_e32 v[52:53], v[2:3], v[90:91]
	v_fma_f64 v[8:9], -v[2:3], v[92:93], v[8:9]
	v_fmac_f64_e32 v[52:53], v[0:1], v[92:93]
	ds_read_b128 v[0:3], v67 offset:288
	s_waitcnt lgkmcnt(1)
	v_fmac_f64_e32 v[8:9], v[4:5], v[94:95]
	v_fmac_f64_e32 v[52:53], v[6:7], v[94:95]
	v_fma_f64 v[8:9], -v[6:7], v[96:97], v[8:9]
	v_fmac_f64_e32 v[52:53], v[4:5], v[96:97]
	ds_read_b128 v[4:7], v67 offset:304
	s_waitcnt vmcnt(3) lgkmcnt(1)
	v_fmac_f64_e32 v[8:9], v[0:1], v[98:99]
	v_fmac_f64_e32 v[52:53], v[2:3], v[98:99]
	v_fma_f64 v[8:9], -v[2:3], v[100:101], v[8:9]
	v_fmac_f64_e32 v[52:53], v[0:1], v[100:101]
	ds_read_b128 v[0:3], v67 offset:336
	s_waitcnt vmcnt(2) lgkmcnt(1)
	;; [unrolled: 6-line block ×3, first 2 shown]
	v_fmac_f64_e32 v[8:9], v[0:1], v[102:103]
	v_fmac_f64_e32 v[52:53], v[2:3], v[102:103]
	v_fma_f64 v[8:9], -v[2:3], v[104:105], v[8:9]
	v_fmac_f64_e32 v[52:53], v[0:1], v[104:105]
	s_waitcnt vmcnt(0) lgkmcnt(0)
	v_fmac_f64_e32 v[8:9], v[4:5], v[106:107]
	v_fmac_f64_e32 v[52:53], v[6:7], v[106:107]
	v_fma_f64 v[62:63], -v[6:7], v[108:109], v[8:9]
	v_fmac_f64_e32 v[52:53], v[4:5], v[108:109]
	s_branch .LBB10_12
.LBB10_17:                              ;   in Loop: Header=BB10_10 Depth=1
	s_or_b64 exec, exec, s[18:19]
.LBB10_18:                              ;   in Loop: Header=BB10_10 Depth=1
	s_or_b64 exec, exec, s[16:17]
	s_and_saveexec_b64 s[6:7], s[4:5]
	s_cbranch_execz .LBB10_9
; %bb.19:                               ;   in Loop: Header=BB10_10 Depth=1
	v_mul_f64 v[0:1], v[52:53], -v[34:35]
	v_mul_f64 v[2:3], v[32:33], v[52:53]
	v_fmac_f64_e32 v[0:1], v[32:33], v[62:63]
	v_fmac_f64_e32 v[2:3], v[34:35], v[62:63]
	s_and_saveexec_b64 s[16:17], s[10:11]
	s_xor_b64 s[16:17], exec, s[16:17]
	s_cbranch_execz .LBB10_24
; %bb.20:                               ;   in Loop: Header=BB10_10 Depth=1
	s_mov_b64 s[18:19], -1
	s_and_b64 vcc, exec, s[22:23]
	s_cbranch_vccz .LBB10_22
; %bb.21:                               ;   in Loop: Header=BB10_10 Depth=1
	global_load_dwordx4 v[4:7], v[44:45], off
	s_mov_b64 s[18:19], 0
	s_waitcnt vmcnt(0)
	v_fma_f64 v[8:9], v[36:37], v[4:5], v[0:1]
	v_fma_f64 v[10:11], v[38:39], v[4:5], v[2:3]
	v_fma_f64 v[8:9], -v[38:39], v[6:7], v[8:9]
	v_fmac_f64_e32 v[10:11], v[36:37], v[6:7]
	global_store_dwordx4 v[44:45], v[8:11], off
.LBB10_22:                              ;   in Loop: Header=BB10_10 Depth=1
	s_andn2_b64 vcc, exec, s[18:19]
	s_cbranch_vccnz .LBB10_24
; %bb.23:                               ;   in Loop: Header=BB10_10 Depth=1
	global_load_dwordx4 v[4:7], v[46:47], off
	s_waitcnt vmcnt(0)
	v_fmac_f64_e32 v[0:1], v[36:37], v[4:5]
	v_fmac_f64_e32 v[2:3], v[38:39], v[4:5]
	v_fma_f64 v[0:1], -v[38:39], v[6:7], v[0:1]
	v_fmac_f64_e32 v[2:3], v[36:37], v[6:7]
	global_store_dwordx4 v[46:47], v[0:3], off
                                        ; implicit-def: $vgpr0_vgpr1
.LBB10_24:                              ;   in Loop: Header=BB10_10 Depth=1
	s_andn2_saveexec_b64 s[16:17], s[16:17]
	s_cbranch_execz .LBB10_9
; %bb.25:                               ;   in Loop: Header=BB10_10 Depth=1
	s_mov_b64 s[16:17], -1
	s_and_b64 vcc, exec, s[22:23]
	s_cbranch_vccz .LBB10_27
; %bb.26:                               ;   in Loop: Header=BB10_10 Depth=1
	global_store_dwordx4 v[44:45], v[0:3], off
	s_mov_b64 s[16:17], 0
.LBB10_27:                              ;   in Loop: Header=BB10_10 Depth=1
	s_andn2_b64 vcc, exec, s[16:17]
	s_cbranch_vccnz .LBB10_9
; %bb.28:                               ;   in Loop: Header=BB10_10 Depth=1
	global_store_dwordx4 v[46:47], v[0:3], off
	s_branch .LBB10_9
.LBB10_29:
	s_endpgm
	.section	.rodata,"a",@progbits
	.p2align	6, 0x0
	.amdhsa_kernel _ZN9rocsparseL29bsrmmnn_small_blockdim_kernelILj64ELj8ELj2Eli21rocsparse_complex_numIdES2_S2_S2_EEv20rocsparse_direction_T3_S4_llNS_24const_host_device_scalarIT7_EEPKT2_PKS4_PKT4_PKT5_llS7_PT6_ll16rocsparse_order_21rocsparse_index_base_b
		.amdhsa_group_segment_fixed_size 3328
		.amdhsa_private_segment_fixed_size 24
		.amdhsa_kernarg_size 408
		.amdhsa_user_sgpr_count 8
		.amdhsa_user_sgpr_private_segment_buffer 1
		.amdhsa_user_sgpr_dispatch_ptr 0
		.amdhsa_user_sgpr_queue_ptr 0
		.amdhsa_user_sgpr_kernarg_segment_ptr 1
		.amdhsa_user_sgpr_dispatch_id 0
		.amdhsa_user_sgpr_flat_scratch_init 1
		.amdhsa_user_sgpr_kernarg_preload_length 0
		.amdhsa_user_sgpr_kernarg_preload_offset 0
		.amdhsa_user_sgpr_private_segment_size 0
		.amdhsa_uses_dynamic_stack 0
		.amdhsa_system_sgpr_private_segment_wavefront_offset 1
		.amdhsa_system_sgpr_workgroup_id_x 1
		.amdhsa_system_sgpr_workgroup_id_y 1
		.amdhsa_system_sgpr_workgroup_id_z 0
		.amdhsa_system_sgpr_workgroup_info 0
		.amdhsa_system_vgpr_workitem_id 0
		.amdhsa_next_free_vgpr 122
		.amdhsa_next_free_sgpr 32
		.amdhsa_accum_offset 124
		.amdhsa_reserve_vcc 1
		.amdhsa_reserve_flat_scratch 1
		.amdhsa_float_round_mode_32 0
		.amdhsa_float_round_mode_16_64 0
		.amdhsa_float_denorm_mode_32 3
		.amdhsa_float_denorm_mode_16_64 3
		.amdhsa_dx10_clamp 1
		.amdhsa_ieee_mode 1
		.amdhsa_fp16_overflow 0
		.amdhsa_tg_split 0
		.amdhsa_exception_fp_ieee_invalid_op 0
		.amdhsa_exception_fp_denorm_src 0
		.amdhsa_exception_fp_ieee_div_zero 0
		.amdhsa_exception_fp_ieee_overflow 0
		.amdhsa_exception_fp_ieee_underflow 0
		.amdhsa_exception_fp_ieee_inexact 0
		.amdhsa_exception_int_div_zero 0
	.end_amdhsa_kernel
	.section	.text._ZN9rocsparseL29bsrmmnn_small_blockdim_kernelILj64ELj8ELj2Eli21rocsparse_complex_numIdES2_S2_S2_EEv20rocsparse_direction_T3_S4_llNS_24const_host_device_scalarIT7_EEPKT2_PKS4_PKT4_PKT5_llS7_PT6_ll16rocsparse_order_21rocsparse_index_base_b,"axG",@progbits,_ZN9rocsparseL29bsrmmnn_small_blockdim_kernelILj64ELj8ELj2Eli21rocsparse_complex_numIdES2_S2_S2_EEv20rocsparse_direction_T3_S4_llNS_24const_host_device_scalarIT7_EEPKT2_PKS4_PKT4_PKT5_llS7_PT6_ll16rocsparse_order_21rocsparse_index_base_b,comdat
.Lfunc_end10:
	.size	_ZN9rocsparseL29bsrmmnn_small_blockdim_kernelILj64ELj8ELj2Eli21rocsparse_complex_numIdES2_S2_S2_EEv20rocsparse_direction_T3_S4_llNS_24const_host_device_scalarIT7_EEPKT2_PKS4_PKT4_PKT5_llS7_PT6_ll16rocsparse_order_21rocsparse_index_base_b, .Lfunc_end10-_ZN9rocsparseL29bsrmmnn_small_blockdim_kernelILj64ELj8ELj2Eli21rocsparse_complex_numIdES2_S2_S2_EEv20rocsparse_direction_T3_S4_llNS_24const_host_device_scalarIT7_EEPKT2_PKS4_PKT4_PKT5_llS7_PT6_ll16rocsparse_order_21rocsparse_index_base_b
                                        ; -- End function
	.section	.AMDGPU.csdata,"",@progbits
; Kernel info:
; codeLenInByte = 2312
; NumSgprs: 38
; NumVgprs: 122
; NumAgprs: 0
; TotalNumVgprs: 122
; ScratchSize: 24
; MemoryBound: 1
; FloatMode: 240
; IeeeMode: 1
; LDSByteSize: 3328 bytes/workgroup (compile time only)
; SGPRBlocks: 4
; VGPRBlocks: 15
; NumSGPRsForWavesPerEU: 38
; NumVGPRsForWavesPerEU: 122
; AccumOffset: 124
; Occupancy: 4
; WaveLimiterHint : 1
; COMPUTE_PGM_RSRC2:SCRATCH_EN: 1
; COMPUTE_PGM_RSRC2:USER_SGPR: 8
; COMPUTE_PGM_RSRC2:TRAP_HANDLER: 0
; COMPUTE_PGM_RSRC2:TGID_X_EN: 1
; COMPUTE_PGM_RSRC2:TGID_Y_EN: 1
; COMPUTE_PGM_RSRC2:TGID_Z_EN: 0
; COMPUTE_PGM_RSRC2:TIDIG_COMP_CNT: 0
; COMPUTE_PGM_RSRC3_GFX90A:ACCUM_OFFSET: 30
; COMPUTE_PGM_RSRC3_GFX90A:TG_SPLIT: 0
	.section	.text._ZN9rocsparseL29bsrmmnn_small_blockdim_kernelILj64ELj8ELj2Ell21rocsparse_complex_numIdES2_S2_S2_EEv20rocsparse_direction_T3_S4_llNS_24const_host_device_scalarIT7_EEPKT2_PKS4_PKT4_PKT5_llS7_PT6_ll16rocsparse_order_21rocsparse_index_base_b,"axG",@progbits,_ZN9rocsparseL29bsrmmnn_small_blockdim_kernelILj64ELj8ELj2Ell21rocsparse_complex_numIdES2_S2_S2_EEv20rocsparse_direction_T3_S4_llNS_24const_host_device_scalarIT7_EEPKT2_PKS4_PKT4_PKT5_llS7_PT6_ll16rocsparse_order_21rocsparse_index_base_b,comdat
	.globl	_ZN9rocsparseL29bsrmmnn_small_blockdim_kernelILj64ELj8ELj2Ell21rocsparse_complex_numIdES2_S2_S2_EEv20rocsparse_direction_T3_S4_llNS_24const_host_device_scalarIT7_EEPKT2_PKS4_PKT4_PKT5_llS7_PT6_ll16rocsparse_order_21rocsparse_index_base_b ; -- Begin function _ZN9rocsparseL29bsrmmnn_small_blockdim_kernelILj64ELj8ELj2Ell21rocsparse_complex_numIdES2_S2_S2_EEv20rocsparse_direction_T3_S4_llNS_24const_host_device_scalarIT7_EEPKT2_PKS4_PKT4_PKT5_llS7_PT6_ll16rocsparse_order_21rocsparse_index_base_b
	.p2align	8
	.type	_ZN9rocsparseL29bsrmmnn_small_blockdim_kernelILj64ELj8ELj2Ell21rocsparse_complex_numIdES2_S2_S2_EEv20rocsparse_direction_T3_S4_llNS_24const_host_device_scalarIT7_EEPKT2_PKS4_PKT4_PKT5_llS7_PT6_ll16rocsparse_order_21rocsparse_index_base_b,@function
_ZN9rocsparseL29bsrmmnn_small_blockdim_kernelILj64ELj8ELj2Ell21rocsparse_complex_numIdES2_S2_S2_EEv20rocsparse_direction_T3_S4_llNS_24const_host_device_scalarIT7_EEPKT2_PKS4_PKT4_PKT5_llS7_PT6_ll16rocsparse_order_21rocsparse_index_base_b: ; @_ZN9rocsparseL29bsrmmnn_small_blockdim_kernelILj64ELj8ELj2Ell21rocsparse_complex_numIdES2_S2_S2_EEv20rocsparse_direction_T3_S4_llNS_24const_host_device_scalarIT7_EEPKT2_PKS4_PKT4_PKT5_llS7_PT6_ll16rocsparse_order_21rocsparse_index_base_b
; %bb.0:
	s_add_u32 flat_scratch_lo, s6, s10
	s_load_dwordx4 s[24:27], s[4:5], 0x90
	s_load_dwordx4 s[16:19], s[4:5], 0x28
	s_addc_u32 flat_scratch_hi, s7, 0
	s_add_u32 s0, s0, s10
	s_load_dwordx4 s[12:15], s[4:5], 0x68
	s_addc_u32 s1, s1, 0
	s_waitcnt lgkmcnt(0)
	s_bitcmp1_b32 s26, 0
	v_mov_b32_e32 v1, 0
	v_mov_b32_e32 v3, s16
	s_cselect_b64 s[6:7], -1, 0
	v_cndmask_b32_e64 v2, v3, v1, s[6:7]
	v_mov_b32_e32 v1, s17
	s_mov_b64 s[10:11], src_private_base
	s_and_b64 vcc, s[6:7], exec
	buffer_store_dword v1, off, s[0:3], 0 offset:4
	buffer_store_dword v3, off, s[0:3], 0
	v_mov_b32_e32 v1, s13
	s_cselect_b32 s10, s11, s17
	buffer_store_dword v1, off, s[0:3], 0 offset:12
	v_mov_b32_e32 v1, s12
	buffer_store_dword v1, off, s[0:3], 0 offset:8
	v_mov_b32_e32 v3, s10
	flat_load_dwordx2 v[40:41], v[2:3]
	s_xor_b64 s[20:21], s[6:7], -1
	v_pk_mov_b32 v[42:43], s[18:19], s[18:19] op_sel:[0,1]
	s_cbranch_vccnz .LBB11_2
; %bb.1:
	v_pk_mov_b32 v[2:3], s[16:17], s[16:17] op_sel:[0,1]
	flat_load_dwordx2 v[42:43], v[2:3] offset:8
.LBB11_2:
	s_and_b64 s[16:17], s[6:7], exec
	s_cselect_b32 s10, s11, s13
	v_mov_b32_e32 v1, 8
	v_mov_b32_e32 v2, s12
	v_cndmask_b32_e64 v2, v2, v1, s[6:7]
	v_mov_b32_e32 v3, s10
	flat_load_dwordx2 v[44:45], v[2:3]
	s_andn2_b64 vcc, exec, s[20:21]
	v_pk_mov_b32 v[46:47], s[14:15], s[14:15] op_sel:[0,1]
	s_cbranch_vccnz .LBB11_4
; %bb.3:
	v_pk_mov_b32 v[2:3], s[12:13], s[12:13] op_sel:[0,1]
	flat_load_dwordx2 v[46:47], v[2:3] offset:8
.LBB11_4:
	s_waitcnt vmcnt(0) lgkmcnt(0)
	v_cmp_eq_f64_e32 vcc, 0, v[40:41]
	v_cmp_eq_f64_e64 s[6:7], 0, v[42:43]
	s_and_b64 s[12:13], vcc, s[6:7]
	s_mov_b64 s[6:7], -1
	s_and_saveexec_b64 s[10:11], s[12:13]
; %bb.5:
	v_cmp_neq_f64_e32 vcc, 1.0, v[44:45]
	v_cmp_neq_f64_e64 s[6:7], 0, v[46:47]
	s_or_b64 s[6:7], vcc, s[6:7]
	s_orn2_b64 s[6:7], s[6:7], exec
; %bb.6:
	s_or_b64 exec, exec, s[10:11]
	s_and_saveexec_b64 s[10:11], s[6:7]
	s_cbranch_execz .LBB11_29
; %bb.7:
	s_load_dword s6, s[4:5], 0xa0
	s_load_dwordx4 s[20:23], s[4:5], 0x8
	s_add_u32 s7, s4, 0xa0
	s_addc_u32 s11, s5, 0
	v_mov_b32_e32 v49, 0
	s_waitcnt lgkmcnt(0)
	s_cmp_lt_u32 s8, s6
	s_cselect_b32 s10, 12, 18
	s_add_u32 s10, s7, s10
	s_addc_u32 s11, s11, 0
	global_load_ushort v2, v49, s[10:11]
	s_mov_b32 s33, 0
	s_waitcnt vmcnt(0)
	v_mul_lo_u32 v1, s8, v2
	v_add_u32_e32 v1, v1, v0
	v_lshrrev_b32_e32 v48, 4, v1
	v_cmp_gt_i64_e32 vcc, s[20:21], v[48:49]
	s_and_b64 exec, exec, vcc
	s_cbranch_execz .LBB11_29
; %bb.8:
	s_load_dwordx8 s[12:19], s[4:5], 0x38
	s_load_dwordx4 s[28:31], s[4:5], 0x78
	s_load_dwordx2 s[10:11], s[4:5], 0x58
	v_and_b32_e32 v50, 7, v1
	v_mul_lo_u32 v2, s6, v2
	v_lshrrev_b32_e32 v51, 4, v2
	v_lshl_or_b32 v2, s9, 3, v50
	s_waitcnt lgkmcnt(0)
	v_mad_u64_u32 v[4:5], s[6:7], v2, s10, 0
	v_mov_b32_e32 v6, v5
	v_mov_b32_e32 v3, v49
	v_mad_u64_u32 v[6:7], s[6:7], v2, s11, v[6:7]
	v_mov_b32_e32 v5, v6
	v_lshrrev_b32_e32 v6, 3, v1
	v_bfe_u32 v8, v1, 3, 1
	v_lshrrev_b32_e32 v10, 3, v0
	v_lshlrev_b64 v[0:1], 4, v[2:3]
	s_load_dword s6, s[4:5], 0x0
	v_mov_b32_e32 v12, s29
	v_add_co_u32_e32 v13, vcc, s28, v0
	v_addc_co_u32_e32 v14, vcc, v12, v1, vcc
	v_mov_b32_e32 v0, 0xc00
	v_cmp_neq_f64_e32 vcc, 0, v[44:45]
	v_cmp_neq_f64_e64 s[4:5], 0, v[46:47]
	v_lshl_or_b32 v72, v10, 6, v0
	s_or_b64 s[10:11], vcc, s[4:5]
	v_mul_u32_u24_e32 v0, 3, v50
	s_cmp_lg_u32 s24, 1
	v_lshlrev_b32_e32 v0, 4, v0
	s_movk_i32 s4, 0x180
	s_cselect_b64 s[26:27], -1, 0
	s_waitcnt lgkmcnt(0)
	s_cmp_eq_u32 s6, 0
	v_mad_u32_u24 v74, v10, s4, v0
	v_mad_u64_u32 v[0:1], s[6:7], v6, s30, 0
	v_mul_u32_u24_e32 v75, 0x180, v10
	v_mov_b32_e32 v10, v1
	v_mad_u64_u32 v[10:11], s[6:7], v6, s31, v[10:11]
	v_mov_b32_e32 v1, v10
	v_lshlrev_b64 v[0:1], 4, v[0:1]
	v_add_co_u32_e32 v52, vcc, v13, v0
	v_addc_co_u32_e32 v53, vcc, v14, v1, vcc
	v_mad_u64_u32 v[0:1], s[6:7], v2, s30, 0
	v_mov_b32_e32 v10, v1
	v_mov_b32_e32 v7, v49
	v_cmp_gt_i64_e64 s[4:5], s[22:23], v[2:3]
	v_mad_u64_u32 v[2:3], s[6:7], v2, s31, v[10:11]
	v_mov_b32_e32 v1, v2
	v_lshlrev_b64 v[2:3], 4, v[6:7]
	v_add_co_u32_e32 v2, vcc, s28, v2
	v_addc_co_u32_e32 v3, vcc, v12, v3, vcc
	v_lshlrev_b64 v[0:1], 4, v[0:1]
	v_add_co_u32_e32 v54, vcc, v2, v0
	v_addc_co_u32_e32 v55, vcc, v3, v1, vcc
	s_cselect_b64 s[6:7], -1, 0
	v_lshlrev_b64 v[2:3], 4, v[4:5]
	v_mov_b32_e32 v9, v49
	v_cndmask_b32_e64 v0, 0, 1, s[6:7]
	s_and_b64 s[6:7], s[6:7], exec
	v_mov_b32_e32 v4, s19
	v_add_co_u32_e32 v76, vcc, s18, v2
	s_cselect_b32 s24, 1, 2
	v_lshlrev_b64 v[0:1], v0, v[8:9]
	v_addc_co_u32_e32 v77, vcc, v4, v3, vcc
	s_add_u32 s22, s16, 8
	v_subrev_co_u32_e32 v78, vcc, s25, v50
	v_lshlrev_b64 v[2:3], 4, v[0:1]
	s_addc_u32 s23, s17, 0
	v_subb_co_u32_e64 v79, s[6:7], 0, 0, vcc
	v_mov_b32_e32 v4, s23
	v_add_co_u32_e32 v80, vcc, s22, v2
	v_addc_co_u32_e32 v81, vcc, v4, v3, vcc
	v_add_co_u32_e32 v82, vcc, s24, v0
	s_mov_b32 s29, s25
	v_lshl_or_b32 v73, v50, 3, v72
	s_mov_b64 s[8:9], 0
	v_addc_co_u32_e32 v83, vcc, 0, v1, vcc
	v_mov_b32_e32 v84, s13
	s_branch .LBB11_10
.LBB11_9:                               ;   in Loop: Header=BB11_10 Depth=1
	s_or_b64 exec, exec, s[6:7]
	v_add_co_u32_e32 v48, vcc, v48, v51
	v_addc_co_u32_e32 v49, vcc, 0, v49, vcc
	v_cmp_le_i64_e32 vcc, s[20:21], v[48:49]
	s_or_b64 s[8:9], vcc, s[8:9]
	s_andn2_b64 exec, exec, s[8:9]
	s_cbranch_execz .LBB11_29
.LBB11_10:                              ; =>This Loop Header: Depth=1
                                        ;     Child Loop BB11_13 Depth 2
	v_lshlrev_b64 v[0:1], 3, v[48:49]
	v_add_co_u32_e32 v0, vcc, s12, v0
	v_addc_co_u32_e32 v1, vcc, v84, v1, vcc
	global_load_dwordx4 v[0:3], v[0:1], off
	v_pk_mov_b32 v[60:61], 0, 0
	v_pk_mov_b32 v[70:71], v[60:61], v[60:61] op_sel:[0,1]
	s_waitcnt vmcnt(0)
	v_cmp_lt_i64_e32 vcc, v[0:1], v[2:3]
	s_and_saveexec_b64 s[16:17], vcc
	s_cbranch_execz .LBB11_18
; %bb.11:                               ;   in Loop: Header=BB11_10 Depth=1
	v_mov_b32_e32 v4, s33
	v_subrev_co_u32_e32 v56, vcc, s29, v2
	v_subb_co_u32_e32 v57, vcc, v3, v4, vcc
	v_subrev_co_u32_e32 v58, vcc, s29, v0
	v_subb_co_u32_e32 v59, vcc, v1, v4, vcc
	v_add_co_u32_e32 v0, vcc, v78, v0
	v_addc_co_u32_e32 v1, vcc, v79, v1, vcc
	v_lshlrev_b64 v[2:3], 3, v[0:1]
	v_mov_b32_e32 v4, s15
	v_add_co_u32_e32 v62, vcc, s14, v2
	v_addc_co_u32_e32 v63, vcc, v4, v3, vcc
	v_lshlrev_b64 v[2:3], 6, v[0:1]
	v_add_co_u32_e32 v64, vcc, v80, v2
	v_addc_co_u32_e32 v65, vcc, v81, v3, vcc
	v_lshlrev_b64 v[0:1], 2, v[0:1]
	;; [unrolled: 3-line block ×3, first 2 shown]
	v_mov_b32_e32 v2, s23
	v_add_co_u32_e32 v66, vcc, s22, v0
	v_pk_mov_b32 v[68:69], 0, 0
	v_addc_co_u32_e32 v67, vcc, v2, v1, vcc
	s_mov_b64 s[18:19], 0
	v_pk_mov_b32 v[60:61], v[68:69], v[68:69] op_sel:[0,1]
	v_pk_mov_b32 v[70:71], v[68:69], v[68:69] op_sel:[0,1]
	s_branch .LBB11_13
.LBB11_12:                              ;   in Loop: Header=BB11_13 Depth=2
	s_or_b64 exec, exec, s[6:7]
	v_add_co_u32_e32 v58, vcc, 8, v58
	v_addc_co_u32_e32 v59, vcc, 0, v59, vcc
	v_add_co_u32_e32 v62, vcc, 64, v62
	v_addc_co_u32_e32 v63, vcc, 0, v63, vcc
	;; [unrolled: 2-line block ×3, first 2 shown]
	v_add_co_u32_e32 v66, vcc, 0x200, v66
	v_cmp_ge_i64_e64 s[6:7], v[58:59], v[56:57]
	s_or_b64 s[18:19], s[6:7], s[18:19]
	v_addc_co_u32_e32 v67, vcc, 0, v67, vcc
	s_andn2_b64 exec, exec, s[18:19]
	s_cbranch_execz .LBB11_17
.LBB11_13:                              ;   Parent Loop BB11_10 Depth=1
                                        ; =>  This Inner Loop Header: Depth=2
	v_add_co_u32_e32 v0, vcc, v50, v58
	v_addc_co_u32_e32 v1, vcc, 0, v59, vcc
	v_cmp_lt_i64_e32 vcc, v[0:1], v[56:57]
	v_pk_mov_b32 v[8:9], v[68:69], v[68:69] op_sel:[0,1]
	v_pk_mov_b32 v[0:1], v[68:69], v[68:69] op_sel:[0,1]
	;; [unrolled: 1-line block ×5, first 2 shown]
	s_and_saveexec_b64 s[6:7], vcc
	s_cbranch_execz .LBB11_15
; %bb.14:                               ;   in Loop: Header=BB11_13 Depth=2
	global_load_dwordx2 v[8:9], v[62:63], off
	global_load_dwordx4 v[0:3], v[64:65], off offset:-8
	global_load_dwordx4 v[4:7], v[66:67], off offset:-8
	v_mov_b32_e32 v10, s33
	s_waitcnt vmcnt(2)
	v_subrev_co_u32_e32 v8, vcc, s29, v8
	v_subb_co_u32_e32 v9, vcc, v9, v10, vcc
	v_lshlrev_b64 v[8:9], 1, v[8:9]
.LBB11_15:                              ;   in Loop: Header=BB11_13 Depth=2
	s_or_b64 exec, exec, s[6:7]
	ds_write_b64 v73, v[8:9]
	s_waitcnt vmcnt(1)
	ds_write_b128 v74, v[0:3]
	s_waitcnt vmcnt(0)
	ds_write_b128 v74, v[4:7] offset:16
	s_waitcnt lgkmcnt(0)
	; wave barrier
	s_waitcnt lgkmcnt(0)
	s_and_saveexec_b64 s[6:7], s[4:5]
	s_cbranch_execz .LBB11_12
; %bb.16:                               ;   in Loop: Header=BB11_13 Depth=2
	ds_read_b128 v[6:9], v72
	ds_read_b128 v[18:21], v72 offset:16
	ds_read_b128 v[86:89], v72 offset:32
	;; [unrolled: 1-line block ×3, first 2 shown]
	s_waitcnt lgkmcnt(3)
	v_lshlrev_b64 v[0:1], 4, v[6:7]
	v_add_co_u32_e32 v4, vcc, v76, v0
	v_addc_co_u32_e32 v5, vcc, v77, v1, vcc
	v_lshlrev_b64 v[8:9], 4, v[8:9]
	global_load_dwordx4 v[0:3], v[4:5], off
	v_add_co_u32_e32 v12, vcc, v76, v8
	v_addc_co_u32_e32 v13, vcc, v77, v9, vcc
	global_load_dwordx4 v[8:11], v[12:13], off
	s_waitcnt lgkmcnt(2)
	v_lshlrev_b64 v[14:15], 4, v[18:19]
	global_load_dwordx4 v[4:7], v[4:5], off offset:16
	v_add_co_u32_e32 v22, vcc, v76, v14
	global_load_dwordx4 v[16:19], v[12:13], off offset:16
	v_addc_co_u32_e32 v23, vcc, v77, v15, vcc
	v_lshlrev_b64 v[24:25], 4, v[20:21]
	global_load_dwordx4 v[12:15], v[22:23], off
	v_add_co_u32_e32 v24, vcc, v76, v24
	v_addc_co_u32_e32 v25, vcc, v77, v25, vcc
	global_load_dwordx4 v[32:35], v[24:25], off
	s_waitcnt lgkmcnt(1)
	v_lshlrev_b64 v[26:27], 4, v[86:87]
	global_load_dwordx4 v[20:23], v[22:23], off offset:16
	v_add_co_u32_e32 v36, vcc, v76, v26
	global_load_dwordx4 v[28:31], v[24:25], off offset:16
	v_addc_co_u32_e32 v37, vcc, v77, v27, vcc
	global_load_dwordx4 v[24:27], v[36:37], off
	v_lshlrev_b64 v[86:87], 4, v[88:89]
	global_load_dwordx4 v[36:39], v[36:37], off offset:16
	v_add_co_u32_e32 v98, vcc, v76, v86
	v_addc_co_u32_e32 v99, vcc, v77, v87, vcc
	global_load_dwordx4 v[86:89], v[98:99], off
	global_load_dwordx4 v[94:97], v[98:99], off offset:16
	s_waitcnt lgkmcnt(0)
	v_lshlrev_b64 v[90:91], 4, v[90:91]
	v_add_co_u32_e32 v90, vcc, v76, v90
	v_addc_co_u32_e32 v91, vcc, v77, v91, vcc
	global_load_dwordx4 v[98:101], v[90:91], off
	global_load_dwordx4 v[102:105], v[90:91], off offset:16
	v_lshlrev_b64 v[90:91], 4, v[92:93]
	v_add_co_u32_e32 v110, vcc, v76, v90
	v_addc_co_u32_e32 v111, vcc, v77, v91, vcc
	global_load_dwordx4 v[90:93], v[110:111], off
	global_load_dwordx4 v[106:109], v[110:111], off offset:16
	ds_read_b128 v[110:113], v75
	ds_read_b128 v[114:117], v75 offset:16
	ds_read_b128 v[118:121], v75 offset:48
	s_waitcnt vmcnt(15) lgkmcnt(2)
	v_fmac_f64_e32 v[70:71], v[110:111], v[0:1]
	v_fmac_f64_e32 v[60:61], v[112:113], v[0:1]
	v_fma_f64 v[70:71], -v[112:113], v[2:3], v[70:71]
	v_fmac_f64_e32 v[60:61], v[110:111], v[2:3]
	ds_read_b128 v[0:3], v75 offset:64
	ds_read_b128 v[110:113], v75 offset:96
	s_waitcnt vmcnt(13) lgkmcnt(3)
	v_fmac_f64_e32 v[70:71], v[114:115], v[4:5]
	v_fmac_f64_e32 v[60:61], v[116:117], v[4:5]
	v_fma_f64 v[70:71], -v[116:117], v[6:7], v[70:71]
	v_fmac_f64_e32 v[60:61], v[114:115], v[6:7]
	s_waitcnt lgkmcnt(2)
	v_fmac_f64_e32 v[70:71], v[118:119], v[8:9]
	v_fmac_f64_e32 v[60:61], v[120:121], v[8:9]
	v_fma_f64 v[70:71], -v[120:121], v[10:11], v[70:71]
	v_fmac_f64_e32 v[60:61], v[118:119], v[10:11]
	ds_read_b128 v[4:7], v75 offset:112
	ds_read_b128 v[114:117], v75 offset:144
	s_waitcnt vmcnt(12) lgkmcnt(3)
	v_fmac_f64_e32 v[70:71], v[0:1], v[16:17]
	v_fmac_f64_e32 v[60:61], v[2:3], v[16:17]
	v_fma_f64 v[16:17], -v[2:3], v[18:19], v[70:71]
	v_fmac_f64_e32 v[60:61], v[0:1], v[18:19]
	s_waitcnt vmcnt(11) lgkmcnt(2)
	v_fmac_f64_e32 v[16:17], v[110:111], v[12:13]
	v_fmac_f64_e32 v[60:61], v[112:113], v[12:13]
	v_fma_f64 v[12:13], -v[112:113], v[14:15], v[16:17]
	v_fmac_f64_e32 v[60:61], v[110:111], v[14:15]
	ds_read_b128 v[8:11], v75 offset:160
	ds_read_b128 v[118:121], v75 offset:192
	s_waitcnt vmcnt(9) lgkmcnt(3)
	v_fmac_f64_e32 v[12:13], v[4:5], v[20:21]
	v_fmac_f64_e32 v[60:61], v[6:7], v[20:21]
	v_fma_f64 v[6:7], -v[6:7], v[22:23], v[12:13]
	v_fmac_f64_e32 v[60:61], v[4:5], v[22:23]
	s_waitcnt lgkmcnt(2)
	v_fmac_f64_e32 v[6:7], v[114:115], v[32:33]
	v_fmac_f64_e32 v[60:61], v[116:117], v[32:33]
	ds_read_b128 v[0:3], v75 offset:208
	v_fma_f64 v[4:5], -v[116:117], v[34:35], v[6:7]
	v_fmac_f64_e32 v[60:61], v[114:115], v[34:35]
	s_waitcnt vmcnt(8) lgkmcnt(2)
	v_fmac_f64_e32 v[4:5], v[8:9], v[28:29]
	v_fmac_f64_e32 v[60:61], v[10:11], v[28:29]
	v_fma_f64 v[4:5], -v[10:11], v[30:31], v[4:5]
	v_fmac_f64_e32 v[60:61], v[8:9], v[30:31]
	s_waitcnt vmcnt(7) lgkmcnt(1)
	v_fmac_f64_e32 v[4:5], v[118:119], v[24:25]
	v_fmac_f64_e32 v[60:61], v[120:121], v[24:25]
	v_fma_f64 v[8:9], -v[120:121], v[26:27], v[4:5]
	ds_read_b128 v[4:7], v75 offset:240
	v_fmac_f64_e32 v[60:61], v[118:119], v[26:27]
	s_waitcnt vmcnt(6) lgkmcnt(1)
	v_fmac_f64_e32 v[8:9], v[0:1], v[36:37]
	v_fmac_f64_e32 v[60:61], v[2:3], v[36:37]
	v_fma_f64 v[8:9], -v[2:3], v[38:39], v[8:9]
	v_fmac_f64_e32 v[60:61], v[0:1], v[38:39]
	ds_read_b128 v[0:3], v75 offset:256
	s_waitcnt vmcnt(5) lgkmcnt(1)
	v_fmac_f64_e32 v[8:9], v[4:5], v[86:87]
	v_fmac_f64_e32 v[60:61], v[6:7], v[86:87]
	v_fma_f64 v[8:9], -v[6:7], v[88:89], v[8:9]
	v_fmac_f64_e32 v[60:61], v[4:5], v[88:89]
	ds_read_b128 v[4:7], v75 offset:288
	;; [unrolled: 6-line block ×5, first 2 shown]
	s_waitcnt vmcnt(1) lgkmcnt(1)
	v_fmac_f64_e32 v[8:9], v[4:5], v[90:91]
	v_fmac_f64_e32 v[60:61], v[6:7], v[90:91]
	v_fma_f64 v[8:9], -v[6:7], v[92:93], v[8:9]
	v_fmac_f64_e32 v[60:61], v[4:5], v[92:93]
	s_waitcnt vmcnt(0) lgkmcnt(0)
	v_fmac_f64_e32 v[8:9], v[0:1], v[106:107]
	v_fmac_f64_e32 v[60:61], v[2:3], v[106:107]
	v_fma_f64 v[70:71], -v[2:3], v[108:109], v[8:9]
	v_fmac_f64_e32 v[60:61], v[0:1], v[108:109]
	s_branch .LBB11_12
.LBB11_17:                              ;   in Loop: Header=BB11_10 Depth=1
	s_or_b64 exec, exec, s[18:19]
.LBB11_18:                              ;   in Loop: Header=BB11_10 Depth=1
	s_or_b64 exec, exec, s[16:17]
	s_and_saveexec_b64 s[6:7], s[4:5]
	s_cbranch_execz .LBB11_9
; %bb.19:                               ;   in Loop: Header=BB11_10 Depth=1
	v_mul_f64 v[0:1], v[60:61], -v[42:43]
	v_mul_f64 v[2:3], v[40:41], v[60:61]
	v_fmac_f64_e32 v[0:1], v[40:41], v[70:71]
	v_fmac_f64_e32 v[2:3], v[42:43], v[70:71]
	s_and_saveexec_b64 s[16:17], s[10:11]
	s_xor_b64 s[16:17], exec, s[16:17]
	s_cbranch_execz .LBB11_24
; %bb.20:                               ;   in Loop: Header=BB11_10 Depth=1
	s_mov_b64 s[18:19], -1
	s_and_b64 vcc, exec, s[26:27]
	s_cbranch_vccz .LBB11_22
; %bb.21:                               ;   in Loop: Header=BB11_10 Depth=1
	global_load_dwordx4 v[4:7], v[52:53], off
	s_mov_b64 s[18:19], 0
	s_waitcnt vmcnt(0)
	v_fma_f64 v[8:9], v[44:45], v[4:5], v[0:1]
	v_fma_f64 v[10:11], v[46:47], v[4:5], v[2:3]
	v_fma_f64 v[8:9], -v[46:47], v[6:7], v[8:9]
	v_fmac_f64_e32 v[10:11], v[44:45], v[6:7]
	global_store_dwordx4 v[52:53], v[8:11], off
.LBB11_22:                              ;   in Loop: Header=BB11_10 Depth=1
	s_andn2_b64 vcc, exec, s[18:19]
	s_cbranch_vccnz .LBB11_24
; %bb.23:                               ;   in Loop: Header=BB11_10 Depth=1
	global_load_dwordx4 v[4:7], v[54:55], off
	s_waitcnt vmcnt(0)
	v_fmac_f64_e32 v[0:1], v[44:45], v[4:5]
	v_fmac_f64_e32 v[2:3], v[46:47], v[4:5]
	v_fma_f64 v[0:1], -v[46:47], v[6:7], v[0:1]
	v_fmac_f64_e32 v[2:3], v[44:45], v[6:7]
	global_store_dwordx4 v[54:55], v[0:3], off
                                        ; implicit-def: $vgpr0_vgpr1
.LBB11_24:                              ;   in Loop: Header=BB11_10 Depth=1
	s_andn2_saveexec_b64 s[16:17], s[16:17]
	s_cbranch_execz .LBB11_9
; %bb.25:                               ;   in Loop: Header=BB11_10 Depth=1
	s_mov_b64 s[16:17], -1
	s_and_b64 vcc, exec, s[26:27]
	s_cbranch_vccz .LBB11_27
; %bb.26:                               ;   in Loop: Header=BB11_10 Depth=1
	global_store_dwordx4 v[52:53], v[0:3], off
	s_mov_b64 s[16:17], 0
.LBB11_27:                              ;   in Loop: Header=BB11_10 Depth=1
	s_andn2_b64 vcc, exec, s[16:17]
	s_cbranch_vccnz .LBB11_9
; %bb.28:                               ;   in Loop: Header=BB11_10 Depth=1
	global_store_dwordx4 v[54:55], v[0:3], off
	s_branch .LBB11_9
.LBB11_29:
	s_endpgm
	.section	.rodata,"a",@progbits
	.p2align	6, 0x0
	.amdhsa_kernel _ZN9rocsparseL29bsrmmnn_small_blockdim_kernelILj64ELj8ELj2Ell21rocsparse_complex_numIdES2_S2_S2_EEv20rocsparse_direction_T3_S4_llNS_24const_host_device_scalarIT7_EEPKT2_PKS4_PKT4_PKT5_llS7_PT6_ll16rocsparse_order_21rocsparse_index_base_b
		.amdhsa_group_segment_fixed_size 3584
		.amdhsa_private_segment_fixed_size 24
		.amdhsa_kernarg_size 416
		.amdhsa_user_sgpr_count 8
		.amdhsa_user_sgpr_private_segment_buffer 1
		.amdhsa_user_sgpr_dispatch_ptr 0
		.amdhsa_user_sgpr_queue_ptr 0
		.amdhsa_user_sgpr_kernarg_segment_ptr 1
		.amdhsa_user_sgpr_dispatch_id 0
		.amdhsa_user_sgpr_flat_scratch_init 1
		.amdhsa_user_sgpr_kernarg_preload_length 0
		.amdhsa_user_sgpr_kernarg_preload_offset 0
		.amdhsa_user_sgpr_private_segment_size 0
		.amdhsa_uses_dynamic_stack 0
		.amdhsa_system_sgpr_private_segment_wavefront_offset 1
		.amdhsa_system_sgpr_workgroup_id_x 1
		.amdhsa_system_sgpr_workgroup_id_y 1
		.amdhsa_system_sgpr_workgroup_id_z 0
		.amdhsa_system_sgpr_workgroup_info 0
		.amdhsa_system_vgpr_workitem_id 0
		.amdhsa_next_free_vgpr 122
		.amdhsa_next_free_sgpr 34
		.amdhsa_accum_offset 124
		.amdhsa_reserve_vcc 1
		.amdhsa_reserve_flat_scratch 1
		.amdhsa_float_round_mode_32 0
		.amdhsa_float_round_mode_16_64 0
		.amdhsa_float_denorm_mode_32 3
		.amdhsa_float_denorm_mode_16_64 3
		.amdhsa_dx10_clamp 1
		.amdhsa_ieee_mode 1
		.amdhsa_fp16_overflow 0
		.amdhsa_tg_split 0
		.amdhsa_exception_fp_ieee_invalid_op 0
		.amdhsa_exception_fp_denorm_src 0
		.amdhsa_exception_fp_ieee_div_zero 0
		.amdhsa_exception_fp_ieee_overflow 0
		.amdhsa_exception_fp_ieee_underflow 0
		.amdhsa_exception_fp_ieee_inexact 0
		.amdhsa_exception_int_div_zero 0
	.end_amdhsa_kernel
	.section	.text._ZN9rocsparseL29bsrmmnn_small_blockdim_kernelILj64ELj8ELj2Ell21rocsparse_complex_numIdES2_S2_S2_EEv20rocsparse_direction_T3_S4_llNS_24const_host_device_scalarIT7_EEPKT2_PKS4_PKT4_PKT5_llS7_PT6_ll16rocsparse_order_21rocsparse_index_base_b,"axG",@progbits,_ZN9rocsparseL29bsrmmnn_small_blockdim_kernelILj64ELj8ELj2Ell21rocsparse_complex_numIdES2_S2_S2_EEv20rocsparse_direction_T3_S4_llNS_24const_host_device_scalarIT7_EEPKT2_PKS4_PKT4_PKT5_llS7_PT6_ll16rocsparse_order_21rocsparse_index_base_b,comdat
.Lfunc_end11:
	.size	_ZN9rocsparseL29bsrmmnn_small_blockdim_kernelILj64ELj8ELj2Ell21rocsparse_complex_numIdES2_S2_S2_EEv20rocsparse_direction_T3_S4_llNS_24const_host_device_scalarIT7_EEPKT2_PKS4_PKT4_PKT5_llS7_PT6_ll16rocsparse_order_21rocsparse_index_base_b, .Lfunc_end11-_ZN9rocsparseL29bsrmmnn_small_blockdim_kernelILj64ELj8ELj2Ell21rocsparse_complex_numIdES2_S2_S2_EEv20rocsparse_direction_T3_S4_llNS_24const_host_device_scalarIT7_EEPKT2_PKS4_PKT4_PKT5_llS7_PT6_ll16rocsparse_order_21rocsparse_index_base_b
                                        ; -- End function
	.section	.AMDGPU.csdata,"",@progbits
; Kernel info:
; codeLenInByte = 2304
; NumSgprs: 40
; NumVgprs: 122
; NumAgprs: 0
; TotalNumVgprs: 122
; ScratchSize: 24
; MemoryBound: 1
; FloatMode: 240
; IeeeMode: 1
; LDSByteSize: 3584 bytes/workgroup (compile time only)
; SGPRBlocks: 4
; VGPRBlocks: 15
; NumSGPRsForWavesPerEU: 40
; NumVGPRsForWavesPerEU: 122
; AccumOffset: 124
; Occupancy: 4
; WaveLimiterHint : 1
; COMPUTE_PGM_RSRC2:SCRATCH_EN: 1
; COMPUTE_PGM_RSRC2:USER_SGPR: 8
; COMPUTE_PGM_RSRC2:TRAP_HANDLER: 0
; COMPUTE_PGM_RSRC2:TGID_X_EN: 1
; COMPUTE_PGM_RSRC2:TGID_Y_EN: 1
; COMPUTE_PGM_RSRC2:TGID_Z_EN: 0
; COMPUTE_PGM_RSRC2:TIDIG_COMP_CNT: 0
; COMPUTE_PGM_RSRC3_GFX90A:ACCUM_OFFSET: 30
; COMPUTE_PGM_RSRC3_GFX90A:TG_SPLIT: 0
	.section	.text._ZN9rocsparseL29bsrmmnn_small_blockdim_kernelILj64ELj8ELj2EiiDF16_DF16_ffEEv20rocsparse_direction_T3_S2_llNS_24const_host_device_scalarIT7_EEPKT2_PKS2_PKT4_PKT5_llS5_PT6_ll16rocsparse_order_21rocsparse_index_base_b,"axG",@progbits,_ZN9rocsparseL29bsrmmnn_small_blockdim_kernelILj64ELj8ELj2EiiDF16_DF16_ffEEv20rocsparse_direction_T3_S2_llNS_24const_host_device_scalarIT7_EEPKT2_PKS2_PKT4_PKT5_llS5_PT6_ll16rocsparse_order_21rocsparse_index_base_b,comdat
	.globl	_ZN9rocsparseL29bsrmmnn_small_blockdim_kernelILj64ELj8ELj2EiiDF16_DF16_ffEEv20rocsparse_direction_T3_S2_llNS_24const_host_device_scalarIT7_EEPKT2_PKS2_PKT4_PKT5_llS5_PT6_ll16rocsparse_order_21rocsparse_index_base_b ; -- Begin function _ZN9rocsparseL29bsrmmnn_small_blockdim_kernelILj64ELj8ELj2EiiDF16_DF16_ffEEv20rocsparse_direction_T3_S2_llNS_24const_host_device_scalarIT7_EEPKT2_PKS2_PKT4_PKT5_llS5_PT6_ll16rocsparse_order_21rocsparse_index_base_b
	.p2align	8
	.type	_ZN9rocsparseL29bsrmmnn_small_blockdim_kernelILj64ELj8ELj2EiiDF16_DF16_ffEEv20rocsparse_direction_T3_S2_llNS_24const_host_device_scalarIT7_EEPKT2_PKS2_PKT4_PKT5_llS5_PT6_ll16rocsparse_order_21rocsparse_index_base_b,@function
_ZN9rocsparseL29bsrmmnn_small_blockdim_kernelILj64ELj8ELj2EiiDF16_DF16_ffEEv20rocsparse_direction_T3_S2_llNS_24const_host_device_scalarIT7_EEPKT2_PKS2_PKT4_PKT5_llS5_PT6_ll16rocsparse_order_21rocsparse_index_base_b: ; @_ZN9rocsparseL29bsrmmnn_small_blockdim_kernelILj64ELj8ELj2EiiDF16_DF16_ffEEv20rocsparse_direction_T3_S2_llNS_24const_host_device_scalarIT7_EEPKT2_PKS2_PKT4_PKT5_llS5_PT6_ll16rocsparse_order_21rocsparse_index_base_b
; %bb.0:
	s_load_dwordx4 s[16:19], s[4:5], 0x78
	s_load_dwordx2 s[2:3], s[4:5], 0x20
	s_load_dwordx2 s[28:29], s[4:5], 0x58
	s_waitcnt lgkmcnt(0)
	s_bitcmp1_b32 s18, 0
	s_cselect_b64 s[8:9], -1, 0
	s_xor_b64 s[0:1], s[8:9], -1
	s_and_b64 vcc, exec, s[8:9]
	s_cbranch_vccnz .LBB12_2
; %bb.1:
	s_load_dword s2, s[2:3], 0x0
.LBB12_2:
	s_andn2_b64 vcc, exec, s[0:1]
	s_cbranch_vccnz .LBB12_4
; %bb.3:
	s_load_dword s28, s[28:29], 0x0
.LBB12_4:
	s_waitcnt lgkmcnt(0)
	v_cmp_eq_f32_e64 s[0:1], s2, 0
	v_cmp_eq_f32_e64 s[8:9], s28, 1.0
	s_and_b64 s[0:1], s[0:1], s[8:9]
	s_and_b64 vcc, exec, s[0:1]
	s_cbranch_vccnz .LBB12_28
; %bb.5:
	s_load_dword s0, s[4:5], 0x88
	s_load_dwordx4 s[20:23], s[4:5], 0x0
	s_add_u32 s1, s4, 0x88
	s_addc_u32 s3, s5, 0
	v_mov_b32_e32 v1, 0
	s_waitcnt lgkmcnt(0)
	s_cmp_lt_u32 s6, s0
	s_cselect_b32 s8, 12, 18
	s_add_u32 s8, s1, s8
	s_addc_u32 s9, s3, 0
	global_load_ushort v4, v1, s[8:9]
	s_waitcnt vmcnt(0)
	v_mul_lo_u32 v2, s6, v4
	v_add_u32_e32 v3, v2, v0
	v_lshrrev_b32_e32 v2, 4, v3
	v_cmp_gt_i32_e32 vcc, s21, v2
	s_and_saveexec_b64 s[8:9], vcc
	s_cbranch_execz .LBB12_28
; %bb.6:
	v_and_b32_e32 v10, 7, v3
	v_mul_lo_u32 v4, s0, v4
	s_load_dwordx4 s[24:27], s[4:5], 0x60
	s_load_dwordx2 s[0:1], s[4:5], 0x48
	v_lshl_or_b32 v6, s7, 3, v10
	v_ashrrev_i32_e32 v7, 31, v6
	v_lshrrev_b32_e32 v11, 4, v4
	v_lshlrev_b64 v[4:5], 2, v[6:7]
	s_load_dwordx8 s[8:15], s[4:5], 0x28
	s_waitcnt lgkmcnt(0)
	v_mov_b32_e32 v19, s25
	v_add_co_u32_e32 v20, vcc, s24, v4
	v_addc_co_u32_e32 v21, vcc, v19, v5, vcc
	v_mul_lo_u32 v8, v7, s0
	v_mul_lo_u32 v9, v6, s1
	v_mad_u64_u32 v[4:5], s[0:1], v6, s0, 0
	v_lshrrev_b32_e32 v0, 3, v0
	v_add3_u32 v5, v5, v9, v8
	v_mov_b32_e32 v8, 0x180
	v_lshl_add_u32 v12, v0, 5, v8
	v_mul_u32_u24_e32 v8, 3, v10
	v_lshlrev_b32_e32 v8, 1, v8
	v_lshlrev_b64 v[4:5], 1, v[4:5]
	v_lshrrev_b32_e32 v18, 3, v3
	v_mad_u32_u24 v14, v0, 48, v8
	v_mul_u32_u24_e32 v15, 48, v0
	v_mov_b32_e32 v0, s15
	v_add_co_u32_e32 v16, vcc, s14, v4
	v_addc_co_u32_e32 v17, vcc, v0, v5, vcc
	v_mad_u64_u32 v[4:5], s[14:15], v18, s26, 0
	v_mov_b32_e32 v0, v5
	v_mad_u64_u32 v[8:9], s[14:15], v18, s27, v[0:1]
	v_mov_b32_e32 v5, v8
	v_cmp_gt_i32_e64 s[0:1], s22, v6
	v_lshlrev_b64 v[4:5], 2, v[4:5]
	v_mul_lo_u32 v0, v7, s26
	v_mul_lo_u32 v8, v6, s27
	v_mad_u64_u32 v[6:7], s[14:15], v6, s26, 0
	v_add_co_u32_e32 v4, vcc, v20, v4
	v_add3_u32 v7, v7, v8, v0
	s_cmp_lg_u32 s16, 1
	v_addc_co_u32_e32 v5, vcc, v21, v5, vcc
	v_lshlrev_b64 v[6:7], 2, v[6:7]
	s_cselect_b64 s[4:5], -1, 0
	s_cmp_eq_u32 s20, 0
	v_add_co_u32_e32 v0, vcc, s24, v6
	v_addc_co_u32_e32 v7, vcc, v19, v7, vcc
	v_lshlrev_b32_e32 v6, 2, v18
	s_cselect_b64 s[14:15], -1, 0
	v_bfe_u32 v3, v3, 3, 1
	v_add_co_u32_e32 v6, vcc, v0, v6
	v_cndmask_b32_e64 v0, 0, 1, s[14:15]
	s_and_b64 s[14:15], s[14:15], exec
	v_lshl_or_b32 v13, v10, 2, v12
	v_cmp_neq_f32_e64 s[6:7], s28, 0
	v_addc_co_u32_e32 v7, vcc, 0, v7, vcc
	s_cselect_b32 s3, 1, 2
	v_lshlrev_b32_e32 v18, v0, v3
	v_subrev_u32_e32 v19, s17, v10
	s_mov_b64 s[14:15], 0
	v_mov_b32_e32 v20, s9
	s_mov_b32 s9, 0x5040100
	s_branch .LBB12_8
.LBB12_7:                               ;   in Loop: Header=BB12_8 Depth=1
	s_or_b64 exec, exec, s[18:19]
	v_add_u32_e32 v2, v2, v11
	v_cmp_le_i32_e32 vcc, s21, v2
	s_or_b64 s[14:15], vcc, s[14:15]
	s_andn2_b64 exec, exec, s[14:15]
	s_cbranch_execz .LBB12_28
.LBB12_8:                               ; =>This Loop Header: Depth=1
                                        ;     Child Loop BB12_11 Depth 2
	v_mov_b32_e32 v3, v1
	v_lshlrev_b64 v[8:9], 2, v[2:3]
	v_add_co_u32_e32 v8, vcc, s8, v8
	v_addc_co_u32_e32 v9, vcc, v20, v9, vcc
	global_load_dwordx2 v[8:9], v[8:9], off
	v_mov_b32_e32 v3, 0
	s_waitcnt vmcnt(0)
	v_cmp_lt_i32_e32 vcc, v8, v9
	s_and_saveexec_b64 s[18:19], vcc
	s_cbranch_execz .LBB12_16
; %bb.9:                                ;   in Loop: Header=BB12_8 Depth=1
	v_add_u32_e32 v0, v19, v8
	v_subrev_u32_e32 v21, s17, v9
	v_subrev_u32_e32 v22, s17, v8
	v_lshl_or_b32 v0, v0, 2, v18
	s_mov_b64 s[22:23], 0
	v_mov_b32_e32 v3, 0
	s_branch .LBB12_11
.LBB12_10:                              ;   in Loop: Header=BB12_11 Depth=2
	s_or_b64 exec, exec, s[24:25]
	v_add_u32_e32 v22, 8, v22
	v_cmp_ge_i32_e32 vcc, v22, v21
	s_or_b64 s[22:23], vcc, s[22:23]
	v_add_u32_e32 v0, 32, v0
	s_andn2_b64 exec, exec, s[22:23]
	s_cbranch_execz .LBB12_15
.LBB12_11:                              ;   Parent Loop BB12_8 Depth=1
                                        ; =>  This Inner Loop Header: Depth=2
	v_add_u32_e32 v8, v10, v22
	v_cmp_lt_i32_e32 vcc, v8, v21
	v_mov_b32_e32 v9, 0
	v_mov_b32_e32 v23, 0
	s_and_saveexec_b64 s[24:25], vcc
	s_cbranch_execz .LBB12_13
; %bb.12:                               ;   in Loop: Header=BB12_11 Depth=2
	v_ashrrev_i32_e32 v9, 31, v8
	v_lshlrev_b64 v[8:9], 2, v[8:9]
	v_mov_b32_e32 v23, s11
	v_add_co_u32_e32 v8, vcc, s10, v8
	v_addc_co_u32_e32 v9, vcc, v23, v9, vcc
	global_load_dword v23, v[8:9], off
	v_lshlrev_b64 v[8:9], 1, v[0:1]
	v_mov_b32_e32 v26, s13
	v_add_co_u32_e32 v8, vcc, s12, v8
	v_add_u32_e32 v24, s3, v0
	v_mov_b32_e32 v25, v1
	v_addc_co_u32_e32 v9, vcc, v26, v9, vcc
	v_lshlrev_b64 v[24:25], 1, v[24:25]
	v_add_co_u32_e32 v24, vcc, s12, v24
	v_addc_co_u32_e32 v25, vcc, v26, v25, vcc
	global_load_ushort v26, v[8:9], off
	global_load_ushort v27, v[24:25], off
	s_waitcnt vmcnt(2)
	v_subrev_u32_e32 v8, s17, v23
	v_lshlrev_b32_e32 v9, 1, v8
	s_waitcnt vmcnt(0)
	v_perm_b32 v23, v27, v26, s9
.LBB12_13:                              ;   in Loop: Header=BB12_11 Depth=2
	s_or_b64 exec, exec, s[24:25]
	ds_write_b32 v13, v9
	ds_write_b32 v14, v23
	s_waitcnt lgkmcnt(0)
	; wave barrier
	s_waitcnt lgkmcnt(0)
	s_and_saveexec_b64 s[24:25], s[0:1]
	s_cbranch_execz .LBB12_10
; %bb.14:                               ;   in Loop: Header=BB12_11 Depth=2
	ds_read_b128 v[24:27], v12
	ds_read_b128 v[28:31], v12 offset:16
	s_waitcnt lgkmcnt(1)
	v_ashrrev_i32_e32 v9, 31, v24
	v_mov_b32_e32 v8, v24
	v_lshlrev_b64 v[8:9], 1, v[8:9]
	v_add_co_u32_e32 v8, vcc, v16, v8
	v_ashrrev_i32_e32 v33, 31, v25
	v_mov_b32_e32 v32, v25
	v_addc_co_u32_e32 v9, vcc, v17, v9, vcc
	v_lshlrev_b64 v[24:25], 1, v[32:33]
	v_add_co_u32_e32 v24, vcc, v16, v24
	v_ashrrev_i32_e32 v33, 31, v26
	v_mov_b32_e32 v32, v26
	v_addc_co_u32_e32 v25, vcc, v17, v25, vcc
	;; [unrolled: 5-line block ×3, first 2 shown]
	v_lshlrev_b64 v[26:27], 1, v[34:35]
	v_add_co_u32_e32 v26, vcc, v16, v26
	s_waitcnt lgkmcnt(0)
	v_ashrrev_i32_e32 v35, 31, v28
	v_mov_b32_e32 v34, v28
	v_addc_co_u32_e32 v27, vcc, v17, v27, vcc
	v_lshlrev_b64 v[34:35], 1, v[34:35]
	v_add_co_u32_e32 v34, vcc, v16, v34
	v_ashrrev_i32_e32 v37, 31, v29
	v_mov_b32_e32 v36, v29
	v_addc_co_u32_e32 v35, vcc, v17, v35, vcc
	v_lshlrev_b64 v[28:29], 1, v[36:37]
	v_add_co_u32_e32 v28, vcc, v16, v28
	v_addc_co_u32_e32 v29, vcc, v17, v29, vcc
	global_load_dword v23, v[8:9], off
	global_load_dword v36, v[24:25], off
	global_load_dword v37, v[32:33], off
	global_load_dword v38, v[26:27], off
	global_load_dword v39, v[34:35], off
	global_load_dword v40, v[28:29], off
	v_ashrrev_i32_e32 v9, 31, v30
	v_mov_b32_e32 v8, v30
	v_lshlrev_b64 v[8:9], 1, v[8:9]
	v_add_co_u32_e32 v8, vcc, v16, v8
	v_ashrrev_i32_e32 v25, 31, v31
	v_mov_b32_e32 v24, v31
	v_addc_co_u32_e32 v9, vcc, v17, v9, vcc
	v_lshlrev_b64 v[24:25], 1, v[24:25]
	v_add_co_u32_e32 v24, vcc, v16, v24
	v_addc_co_u32_e32 v25, vcc, v17, v25, vcc
	global_load_dword v26, v[8:9], off
	global_load_dword v27, v[24:25], off
	ds_read2_b32 v[8:9], v15 offset1:3
	ds_read2_b32 v[24:25], v15 offset0:6 offset1:9
	ds_read_u16 v28, v15 offset:6
	ds_read_u16 v29, v15 offset:8
	;; [unrolled: 1-line block ×8, first 2 shown]
	s_waitcnt vmcnt(7) lgkmcnt(9)
	v_dot2c_f32_f16_e32 v3, v8, v23
	s_waitcnt vmcnt(6) lgkmcnt(7)
	s_nop 1
	v_fma_mix_f32 v3, v28, v36, v3 op_sel_hi:[1,1,0]
	s_waitcnt lgkmcnt(6)
	v_fma_mix_f32 v3, v29, v36, v3 op_sel:[0,1,0] op_sel_hi:[1,1,0]
	s_waitcnt vmcnt(5)
	v_dot2c_f32_f16_e32 v3, v9, v37
	s_waitcnt vmcnt(4) lgkmcnt(5)
	s_nop 1
	v_fma_mix_f32 v3, v30, v38, v3 op_sel_hi:[1,1,0]
	s_waitcnt lgkmcnt(4)
	v_fma_mix_f32 v3, v31, v38, v3 op_sel:[0,1,0] op_sel_hi:[1,1,0]
	s_waitcnt vmcnt(3)
	;; [unrolled: 7-line block ×3, first 2 shown]
	v_dot2c_f32_f16_e32 v3, v25, v26
	s_waitcnt vmcnt(0) lgkmcnt(1)
	s_nop 1
	v_fma_mix_f32 v3, v34, v27, v3 op_sel_hi:[1,1,0]
	s_waitcnt lgkmcnt(0)
	v_fma_mix_f32 v3, v35, v27, v3 op_sel:[0,1,0] op_sel_hi:[1,1,0]
	s_branch .LBB12_10
.LBB12_15:                              ;   in Loop: Header=BB12_8 Depth=1
	s_or_b64 exec, exec, s[22:23]
.LBB12_16:                              ;   in Loop: Header=BB12_8 Depth=1
	s_or_b64 exec, exec, s[18:19]
	s_and_saveexec_b64 s[18:19], s[0:1]
	s_cbranch_execz .LBB12_7
; %bb.17:                               ;   in Loop: Header=BB12_8 Depth=1
	v_mul_f32_e32 v0, s2, v3
	s_mov_b64 s[22:23], -1
	s_and_b64 vcc, exec, s[6:7]
	s_cbranch_vccz .LBB12_23
; %bb.18:                               ;   in Loop: Header=BB12_8 Depth=1
	s_and_b64 vcc, exec, s[4:5]
	s_cbranch_vccz .LBB12_20
; %bb.19:                               ;   in Loop: Header=BB12_8 Depth=1
	global_load_dword v3, v[4:5], off
	s_mov_b64 s[22:23], 0
	s_waitcnt vmcnt(0)
	v_fma_f32 v3, s28, v3, v0
	global_store_dword v[4:5], v3, off
.LBB12_20:                              ;   in Loop: Header=BB12_8 Depth=1
	s_andn2_b64 vcc, exec, s[22:23]
	s_cbranch_vccnz .LBB12_22
; %bb.21:                               ;   in Loop: Header=BB12_8 Depth=1
	global_load_dword v3, v[6:7], off
	s_waitcnt vmcnt(0)
	v_fma_f32 v3, s28, v3, v0
	global_store_dword v[6:7], v3, off
.LBB12_22:                              ;   in Loop: Header=BB12_8 Depth=1
	s_mov_b64 s[22:23], 0
.LBB12_23:                              ;   in Loop: Header=BB12_8 Depth=1
	s_andn2_b64 vcc, exec, s[22:23]
	s_cbranch_vccnz .LBB12_7
; %bb.24:                               ;   in Loop: Header=BB12_8 Depth=1
	s_mov_b64 s[22:23], -1
	s_and_b64 vcc, exec, s[4:5]
	s_cbranch_vccz .LBB12_26
; %bb.25:                               ;   in Loop: Header=BB12_8 Depth=1
	global_store_dword v[4:5], v0, off
	s_mov_b64 s[22:23], 0
.LBB12_26:                              ;   in Loop: Header=BB12_8 Depth=1
	s_andn2_b64 vcc, exec, s[22:23]
	s_cbranch_vccnz .LBB12_7
; %bb.27:                               ;   in Loop: Header=BB12_8 Depth=1
	global_store_dword v[6:7], v0, off
	s_branch .LBB12_7
.LBB12_28:
	s_endpgm
	.section	.rodata,"a",@progbits
	.p2align	6, 0x0
	.amdhsa_kernel _ZN9rocsparseL29bsrmmnn_small_blockdim_kernelILj64ELj8ELj2EiiDF16_DF16_ffEEv20rocsparse_direction_T3_S2_llNS_24const_host_device_scalarIT7_EEPKT2_PKS2_PKT4_PKT5_llS5_PT6_ll16rocsparse_order_21rocsparse_index_base_b
		.amdhsa_group_segment_fixed_size 640
		.amdhsa_private_segment_fixed_size 0
		.amdhsa_kernarg_size 392
		.amdhsa_user_sgpr_count 6
		.amdhsa_user_sgpr_private_segment_buffer 1
		.amdhsa_user_sgpr_dispatch_ptr 0
		.amdhsa_user_sgpr_queue_ptr 0
		.amdhsa_user_sgpr_kernarg_segment_ptr 1
		.amdhsa_user_sgpr_dispatch_id 0
		.amdhsa_user_sgpr_flat_scratch_init 0
		.amdhsa_user_sgpr_kernarg_preload_length 0
		.amdhsa_user_sgpr_kernarg_preload_offset 0
		.amdhsa_user_sgpr_private_segment_size 0
		.amdhsa_uses_dynamic_stack 0
		.amdhsa_system_sgpr_private_segment_wavefront_offset 0
		.amdhsa_system_sgpr_workgroup_id_x 1
		.amdhsa_system_sgpr_workgroup_id_y 1
		.amdhsa_system_sgpr_workgroup_id_z 0
		.amdhsa_system_sgpr_workgroup_info 0
		.amdhsa_system_vgpr_workitem_id 0
		.amdhsa_next_free_vgpr 41
		.amdhsa_next_free_sgpr 30
		.amdhsa_accum_offset 44
		.amdhsa_reserve_vcc 1
		.amdhsa_reserve_flat_scratch 0
		.amdhsa_float_round_mode_32 0
		.amdhsa_float_round_mode_16_64 0
		.amdhsa_float_denorm_mode_32 3
		.amdhsa_float_denorm_mode_16_64 3
		.amdhsa_dx10_clamp 1
		.amdhsa_ieee_mode 1
		.amdhsa_fp16_overflow 0
		.amdhsa_tg_split 0
		.amdhsa_exception_fp_ieee_invalid_op 0
		.amdhsa_exception_fp_denorm_src 0
		.amdhsa_exception_fp_ieee_div_zero 0
		.amdhsa_exception_fp_ieee_overflow 0
		.amdhsa_exception_fp_ieee_underflow 0
		.amdhsa_exception_fp_ieee_inexact 0
		.amdhsa_exception_int_div_zero 0
	.end_amdhsa_kernel
	.section	.text._ZN9rocsparseL29bsrmmnn_small_blockdim_kernelILj64ELj8ELj2EiiDF16_DF16_ffEEv20rocsparse_direction_T3_S2_llNS_24const_host_device_scalarIT7_EEPKT2_PKS2_PKT4_PKT5_llS5_PT6_ll16rocsparse_order_21rocsparse_index_base_b,"axG",@progbits,_ZN9rocsparseL29bsrmmnn_small_blockdim_kernelILj64ELj8ELj2EiiDF16_DF16_ffEEv20rocsparse_direction_T3_S2_llNS_24const_host_device_scalarIT7_EEPKT2_PKS2_PKT4_PKT5_llS5_PT6_ll16rocsparse_order_21rocsparse_index_base_b,comdat
.Lfunc_end12:
	.size	_ZN9rocsparseL29bsrmmnn_small_blockdim_kernelILj64ELj8ELj2EiiDF16_DF16_ffEEv20rocsparse_direction_T3_S2_llNS_24const_host_device_scalarIT7_EEPKT2_PKS2_PKT4_PKT5_llS5_PT6_ll16rocsparse_order_21rocsparse_index_base_b, .Lfunc_end12-_ZN9rocsparseL29bsrmmnn_small_blockdim_kernelILj64ELj8ELj2EiiDF16_DF16_ffEEv20rocsparse_direction_T3_S2_llNS_24const_host_device_scalarIT7_EEPKT2_PKS2_PKT4_PKT5_llS5_PT6_ll16rocsparse_order_21rocsparse_index_base_b
                                        ; -- End function
	.section	.AMDGPU.csdata,"",@progbits
; Kernel info:
; codeLenInByte = 1544
; NumSgprs: 34
; NumVgprs: 41
; NumAgprs: 0
; TotalNumVgprs: 41
; ScratchSize: 0
; MemoryBound: 0
; FloatMode: 240
; IeeeMode: 1
; LDSByteSize: 640 bytes/workgroup (compile time only)
; SGPRBlocks: 4
; VGPRBlocks: 5
; NumSGPRsForWavesPerEU: 34
; NumVGPRsForWavesPerEU: 41
; AccumOffset: 44
; Occupancy: 8
; WaveLimiterHint : 0
; COMPUTE_PGM_RSRC2:SCRATCH_EN: 0
; COMPUTE_PGM_RSRC2:USER_SGPR: 6
; COMPUTE_PGM_RSRC2:TRAP_HANDLER: 0
; COMPUTE_PGM_RSRC2:TGID_X_EN: 1
; COMPUTE_PGM_RSRC2:TGID_Y_EN: 1
; COMPUTE_PGM_RSRC2:TGID_Z_EN: 0
; COMPUTE_PGM_RSRC2:TIDIG_COMP_CNT: 0
; COMPUTE_PGM_RSRC3_GFX90A:ACCUM_OFFSET: 10
; COMPUTE_PGM_RSRC3_GFX90A:TG_SPLIT: 0
	.section	.text._ZN9rocsparseL29bsrmmnn_small_blockdim_kernelILj64ELj8ELj2EliDF16_DF16_ffEEv20rocsparse_direction_T3_S2_llNS_24const_host_device_scalarIT7_EEPKT2_PKS2_PKT4_PKT5_llS5_PT6_ll16rocsparse_order_21rocsparse_index_base_b,"axG",@progbits,_ZN9rocsparseL29bsrmmnn_small_blockdim_kernelILj64ELj8ELj2EliDF16_DF16_ffEEv20rocsparse_direction_T3_S2_llNS_24const_host_device_scalarIT7_EEPKT2_PKS2_PKT4_PKT5_llS5_PT6_ll16rocsparse_order_21rocsparse_index_base_b,comdat
	.globl	_ZN9rocsparseL29bsrmmnn_small_blockdim_kernelILj64ELj8ELj2EliDF16_DF16_ffEEv20rocsparse_direction_T3_S2_llNS_24const_host_device_scalarIT7_EEPKT2_PKS2_PKT4_PKT5_llS5_PT6_ll16rocsparse_order_21rocsparse_index_base_b ; -- Begin function _ZN9rocsparseL29bsrmmnn_small_blockdim_kernelILj64ELj8ELj2EliDF16_DF16_ffEEv20rocsparse_direction_T3_S2_llNS_24const_host_device_scalarIT7_EEPKT2_PKS2_PKT4_PKT5_llS5_PT6_ll16rocsparse_order_21rocsparse_index_base_b
	.p2align	8
	.type	_ZN9rocsparseL29bsrmmnn_small_blockdim_kernelILj64ELj8ELj2EliDF16_DF16_ffEEv20rocsparse_direction_T3_S2_llNS_24const_host_device_scalarIT7_EEPKT2_PKS2_PKT4_PKT5_llS5_PT6_ll16rocsparse_order_21rocsparse_index_base_b,@function
_ZN9rocsparseL29bsrmmnn_small_blockdim_kernelILj64ELj8ELj2EliDF16_DF16_ffEEv20rocsparse_direction_T3_S2_llNS_24const_host_device_scalarIT7_EEPKT2_PKS2_PKT4_PKT5_llS5_PT6_ll16rocsparse_order_21rocsparse_index_base_b: ; @_ZN9rocsparseL29bsrmmnn_small_blockdim_kernelILj64ELj8ELj2EliDF16_DF16_ffEEv20rocsparse_direction_T3_S2_llNS_24const_host_device_scalarIT7_EEPKT2_PKS2_PKT4_PKT5_llS5_PT6_ll16rocsparse_order_21rocsparse_index_base_b
; %bb.0:
	s_load_dwordx4 s[16:19], s[4:5], 0x78
	s_load_dwordx2 s[2:3], s[4:5], 0x20
	s_load_dwordx2 s[28:29], s[4:5], 0x58
	s_waitcnt lgkmcnt(0)
	s_bitcmp1_b32 s18, 0
	s_cselect_b64 s[8:9], -1, 0
	s_xor_b64 s[0:1], s[8:9], -1
	s_and_b64 vcc, exec, s[8:9]
	s_cbranch_vccnz .LBB13_2
; %bb.1:
	s_load_dword s2, s[2:3], 0x0
.LBB13_2:
	s_andn2_b64 vcc, exec, s[0:1]
	s_cbranch_vccnz .LBB13_4
; %bb.3:
	s_load_dword s28, s[28:29], 0x0
.LBB13_4:
	s_waitcnt lgkmcnt(0)
	v_cmp_eq_f32_e64 s[0:1], s2, 0
	v_cmp_eq_f32_e64 s[8:9], s28, 1.0
	s_and_b64 s[0:1], s[0:1], s[8:9]
	s_and_b64 vcc, exec, s[0:1]
	s_cbranch_vccnz .LBB13_28
; %bb.5:
	s_load_dword s0, s[4:5], 0x88
	s_load_dwordx4 s[20:23], s[4:5], 0x0
	s_add_u32 s1, s4, 0x88
	s_addc_u32 s3, s5, 0
	v_mov_b32_e32 v5, 0
	s_waitcnt lgkmcnt(0)
	s_cmp_lt_u32 s6, s0
	s_cselect_b32 s8, 12, 18
	s_add_u32 s8, s1, s8
	s_addc_u32 s9, s3, 0
	global_load_ushort v2, v5, s[8:9]
	s_waitcnt vmcnt(0)
	v_mul_lo_u32 v1, s6, v2
	v_add_u32_e32 v1, v1, v0
	v_lshrrev_b32_e32 v4, 4, v1
	v_cmp_gt_i32_e32 vcc, s21, v4
	s_and_saveexec_b64 s[8:9], vcc
	s_cbranch_execz .LBB13_28
; %bb.6:
	v_mul_lo_u32 v2, s0, v2
	s_load_dwordx4 s[24:27], s[4:5], 0x60
	s_load_dwordx2 s[0:1], s[4:5], 0x48
	v_and_b32_e32 v6, 7, v1
	v_lshrrev_b32_e32 v7, 4, v2
	v_lshl_or_b32 v2, s7, 3, v6
	v_ashrrev_i32_e32 v3, 31, v2
	v_lshlrev_b64 v[8:9], 2, v[2:3]
	s_load_dwordx8 s[8:15], s[4:5], 0x28
	s_waitcnt lgkmcnt(0)
	v_mov_b32_e32 v11, s25
	v_add_co_u32_e32 v12, vcc, s24, v8
	v_lshrrev_b32_e32 v10, 3, v0
	v_addc_co_u32_e32 v13, vcc, v11, v9, vcc
	v_lshrrev_b32_e32 v14, 3, v1
	v_bfe_u32 v15, v1, 3, 1
	v_mul_lo_u32 v8, v3, s0
	v_mul_lo_u32 v9, v2, s1
	v_mad_u64_u32 v[0:1], s[0:1], v2, s0, 0
	v_add3_u32 v1, v1, v9, v8
	v_mov_b32_e32 v8, 0x180
	v_lshl_add_u32 v18, v10, 5, v8
	v_mul_u32_u24_e32 v8, 3, v6
	v_lshlrev_b32_e32 v8, 1, v8
	v_lshlrev_b64 v[0:1], 1, v[0:1]
	v_mad_u32_u24 v20, v10, 48, v8
	v_mov_b32_e32 v8, s15
	v_add_co_u32_e32 v22, vcc, s14, v0
	v_addc_co_u32_e32 v23, vcc, v8, v1, vcc
	v_mad_u64_u32 v[0:1], s[14:15], v14, s26, 0
	v_mov_b32_e32 v8, v1
	v_mad_u64_u32 v[8:9], s[14:15], v14, s27, v[8:9]
	v_mov_b32_e32 v1, v8
	v_lshlrev_b64 v[0:1], 2, v[0:1]
	v_add_co_u32_e32 v8, vcc, v12, v0
	v_mul_u32_u24_e32 v21, 48, v10
	v_addc_co_u32_e32 v9, vcc, v13, v1, vcc
	v_mul_lo_u32 v3, v3, s26
	v_mul_lo_u32 v10, v2, s27
	v_mad_u64_u32 v[0:1], s[14:15], v2, s26, 0
	v_add3_u32 v1, v1, v10, v3
	s_cmp_lg_u32 s16, 1
	v_lshlrev_b64 v[0:1], 2, v[0:1]
	s_cselect_b64 s[4:5], -1, 0
	s_cmp_eq_u32 s20, 0
	v_add_co_u32_e32 v0, vcc, s24, v0
	v_cmp_gt_i32_e64 s[0:1], s22, v2
	v_addc_co_u32_e32 v1, vcc, v11, v1, vcc
	v_lshlrev_b32_e32 v2, 2, v14
	s_cselect_b64 s[14:15], -1, 0
	v_add_co_u32_e32 v10, vcc, v0, v2
	v_cndmask_b32_e64 v0, 0, 1, s[14:15]
	v_addc_co_u32_e32 v11, vcc, 0, v1, vcc
	v_lshlrev_b32_e32 v0, v0, v15
	v_subrev_co_u32_e32 v24, vcc, s17, v6
	v_lshlrev_b32_e32 v1, 1, v0
	s_and_b64 s[14:15], s[14:15], exec
	v_subb_co_u32_e64 v25, s[14:15], 0, 0, vcc
	v_mov_b32_e32 v2, s13
	v_add_co_u32_e32 v26, vcc, s12, v1
	s_cselect_b32 s16, 1, 2
	v_addc_co_u32_e32 v27, vcc, 0, v2, vcc
	v_add_co_u32_e32 v28, vcc, s16, v0
	v_addc_co_u32_e64 v29, s[14:15], 0, 0, vcc
	s_mov_b32 s3, 0
	s_mov_b32 s29, s17
	v_lshl_or_b32 v19, v6, 2, v18
	v_cmp_neq_f32_e64 s[6:7], s28, 0
	s_mov_b64 s[14:15], 0
	s_mov_b32 s16, 0x5040100
	v_mov_b32_e32 v30, s9
	s_branch .LBB13_8
.LBB13_7:                               ;   in Loop: Header=BB13_8 Depth=1
	s_or_b64 exec, exec, s[18:19]
	v_add_u32_e32 v4, v4, v7
	v_cmp_le_i32_e32 vcc, s21, v4
	s_or_b64 s[14:15], vcc, s[14:15]
	s_andn2_b64 exec, exec, s[14:15]
	s_cbranch_execz .LBB13_28
.LBB13_8:                               ; =>This Loop Header: Depth=1
                                        ;     Child Loop BB13_11 Depth 2
	v_lshlrev_b64 v[0:1], 3, v[4:5]
	v_add_co_u32_e32 v0, vcc, s8, v0
	v_addc_co_u32_e32 v1, vcc, v30, v1, vcc
	global_load_dwordx4 v[0:3], v[0:1], off
	v_mov_b32_e32 v31, 0
	s_waitcnt vmcnt(0)
	v_cmp_lt_i64_e32 vcc, v[0:1], v[2:3]
	s_and_saveexec_b64 s[18:19], vcc
	s_cbranch_execz .LBB13_16
; %bb.9:                                ;   in Loop: Header=BB13_8 Depth=1
	v_mov_b32_e32 v13, s3
	v_subrev_co_u32_e32 v2, vcc, s29, v2
	v_subb_co_u32_e32 v3, vcc, v3, v13, vcc
	v_subrev_co_u32_e32 v12, vcc, s29, v0
	v_subb_co_u32_e32 v13, vcc, v1, v13, vcc
	v_add_co_u32_e32 v14, vcc, v24, v0
	v_addc_co_u32_e32 v15, vcc, v25, v1, vcc
	v_lshlrev_b64 v[16:17], 2, v[14:15]
	v_mov_b32_e32 v1, s11
	v_add_co_u32_e32 v0, vcc, s10, v16
	v_addc_co_u32_e32 v1, vcc, v1, v17, vcc
	v_lshlrev_b64 v[14:15], 3, v[14:15]
	v_add_co_u32_e32 v14, vcc, v26, v14
	v_addc_co_u32_e32 v15, vcc, v27, v15, vcc
	v_add_co_u32_e32 v16, vcc, v28, v16
	v_addc_co_u32_e32 v17, vcc, v29, v17, vcc
	v_lshlrev_b64 v[16:17], 1, v[16:17]
	v_mov_b32_e32 v31, s13
	v_add_co_u32_e32 v16, vcc, s12, v16
	v_addc_co_u32_e32 v17, vcc, v31, v17, vcc
	s_mov_b64 s[22:23], 0
	v_mov_b32_e32 v31, 0
	s_branch .LBB13_11
.LBB13_10:                              ;   in Loop: Header=BB13_11 Depth=2
	s_or_b64 exec, exec, s[24:25]
	v_add_co_u32_e32 v12, vcc, 8, v12
	v_addc_co_u32_e32 v13, vcc, 0, v13, vcc
	v_add_co_u32_e32 v0, vcc, 32, v0
	v_addc_co_u32_e32 v1, vcc, 0, v1, vcc
	;; [unrolled: 2-line block ×3, first 2 shown]
	v_cmp_ge_i64_e32 vcc, v[12:13], v[2:3]
	s_or_b64 s[22:23], vcc, s[22:23]
	v_add_co_u32_e32 v16, vcc, 64, v16
	v_addc_co_u32_e32 v17, vcc, 0, v17, vcc
	s_andn2_b64 exec, exec, s[22:23]
	s_cbranch_execz .LBB13_15
.LBB13_11:                              ;   Parent Loop BB13_8 Depth=1
                                        ; =>  This Inner Loop Header: Depth=2
	v_add_co_u32_e32 v32, vcc, v6, v12
	v_addc_co_u32_e32 v33, vcc, 0, v13, vcc
	v_cmp_lt_i64_e32 vcc, v[32:33], v[2:3]
	v_mov_b32_e32 v32, 0
	v_mov_b32_e32 v33, 0
	s_and_saveexec_b64 s[24:25], vcc
	s_cbranch_execz .LBB13_13
; %bb.12:                               ;   in Loop: Header=BB13_11 Depth=2
	global_load_dword v32, v[0:1], off
	global_load_ushort v33, v[14:15], off
	global_load_ushort v34, v[16:17], off
	s_waitcnt vmcnt(2)
	v_subrev_u32_e32 v32, s17, v32
	v_lshlrev_b32_e32 v32, 1, v32
	s_waitcnt vmcnt(0)
	v_perm_b32 v33, v34, v33, s16
.LBB13_13:                              ;   in Loop: Header=BB13_11 Depth=2
	s_or_b64 exec, exec, s[24:25]
	ds_write_b32 v19, v32
	ds_write_b32 v20, v33
	s_waitcnt lgkmcnt(0)
	; wave barrier
	s_waitcnt lgkmcnt(0)
	s_and_saveexec_b64 s[24:25], s[0:1]
	s_cbranch_execz .LBB13_10
; %bb.14:                               ;   in Loop: Header=BB13_11 Depth=2
	ds_read_b128 v[32:35], v18
	ds_read_b128 v[36:39], v18 offset:16
	s_waitcnt lgkmcnt(1)
	v_ashrrev_i32_e32 v41, 31, v32
	v_mov_b32_e32 v40, v32
	v_lshlrev_b64 v[40:41], 1, v[40:41]
	v_add_co_u32_e32 v40, vcc, v22, v40
	v_ashrrev_i32_e32 v43, 31, v33
	v_mov_b32_e32 v42, v33
	v_addc_co_u32_e32 v41, vcc, v23, v41, vcc
	v_lshlrev_b64 v[32:33], 1, v[42:43]
	v_add_co_u32_e32 v32, vcc, v22, v32
	v_ashrrev_i32_e32 v43, 31, v34
	v_mov_b32_e32 v42, v34
	v_addc_co_u32_e32 v33, vcc, v23, v33, vcc
	;; [unrolled: 5-line block ×3, first 2 shown]
	v_lshlrev_b64 v[34:35], 1, v[44:45]
	v_add_co_u32_e32 v34, vcc, v22, v34
	s_waitcnt lgkmcnt(0)
	v_ashrrev_i32_e32 v45, 31, v36
	v_mov_b32_e32 v44, v36
	v_addc_co_u32_e32 v35, vcc, v23, v35, vcc
	v_lshlrev_b64 v[44:45], 1, v[44:45]
	v_add_co_u32_e32 v44, vcc, v22, v44
	v_ashrrev_i32_e32 v47, 31, v37
	v_mov_b32_e32 v46, v37
	v_addc_co_u32_e32 v45, vcc, v23, v45, vcc
	v_lshlrev_b64 v[36:37], 1, v[46:47]
	v_add_co_u32_e32 v36, vcc, v22, v36
	v_addc_co_u32_e32 v37, vcc, v23, v37, vcc
	global_load_dword v46, v[40:41], off
	global_load_dword v47, v[32:33], off
	;; [unrolled: 1-line block ×6, first 2 shown]
	v_ashrrev_i32_e32 v33, 31, v38
	v_mov_b32_e32 v32, v38
	v_lshlrev_b64 v[32:33], 1, v[32:33]
	v_add_co_u32_e32 v32, vcc, v22, v32
	v_ashrrev_i32_e32 v35, 31, v39
	v_mov_b32_e32 v34, v39
	v_addc_co_u32_e32 v33, vcc, v23, v33, vcc
	v_lshlrev_b64 v[34:35], 1, v[34:35]
	v_add_co_u32_e32 v34, vcc, v22, v34
	v_addc_co_u32_e32 v35, vcc, v23, v35, vcc
	global_load_dword v36, v[32:33], off
	global_load_dword v37, v[34:35], off
	ds_read2_b32 v[32:33], v21 offset1:3
	ds_read2_b32 v[34:35], v21 offset0:6 offset1:9
	ds_read_u16 v38, v21 offset:6
	ds_read_u16 v39, v21 offset:8
	;; [unrolled: 1-line block ×8, first 2 shown]
	s_waitcnt vmcnt(7) lgkmcnt(9)
	v_dot2c_f32_f16_e32 v31, v32, v46
	s_waitcnt vmcnt(6) lgkmcnt(7)
	s_nop 1
	v_fma_mix_f32 v31, v38, v47, v31 op_sel_hi:[1,1,0]
	s_waitcnt lgkmcnt(6)
	v_fma_mix_f32 v31, v39, v47, v31 op_sel:[0,1,0] op_sel_hi:[1,1,0]
	s_waitcnt vmcnt(5)
	v_dot2c_f32_f16_e32 v31, v33, v48
	s_waitcnt vmcnt(4) lgkmcnt(5)
	s_nop 1
	v_fma_mix_f32 v31, v40, v49, v31 op_sel_hi:[1,1,0]
	s_waitcnt lgkmcnt(4)
	v_fma_mix_f32 v31, v41, v49, v31 op_sel:[0,1,0] op_sel_hi:[1,1,0]
	s_waitcnt vmcnt(3)
	;; [unrolled: 7-line block ×3, first 2 shown]
	v_dot2c_f32_f16_e32 v31, v35, v36
	s_waitcnt vmcnt(0) lgkmcnt(1)
	s_nop 1
	v_fma_mix_f32 v31, v44, v37, v31 op_sel_hi:[1,1,0]
	s_waitcnt lgkmcnt(0)
	v_fma_mix_f32 v31, v45, v37, v31 op_sel:[0,1,0] op_sel_hi:[1,1,0]
	s_branch .LBB13_10
.LBB13_15:                              ;   in Loop: Header=BB13_8 Depth=1
	s_or_b64 exec, exec, s[22:23]
.LBB13_16:                              ;   in Loop: Header=BB13_8 Depth=1
	s_or_b64 exec, exec, s[18:19]
	s_and_saveexec_b64 s[18:19], s[0:1]
	s_cbranch_execz .LBB13_7
; %bb.17:                               ;   in Loop: Header=BB13_8 Depth=1
	v_mul_f32_e32 v0, s2, v31
	s_mov_b64 s[22:23], -1
	s_and_b64 vcc, exec, s[6:7]
	s_cbranch_vccz .LBB13_23
; %bb.18:                               ;   in Loop: Header=BB13_8 Depth=1
	s_and_b64 vcc, exec, s[4:5]
	s_cbranch_vccz .LBB13_20
; %bb.19:                               ;   in Loop: Header=BB13_8 Depth=1
	global_load_dword v1, v[8:9], off
	s_mov_b64 s[22:23], 0
	s_waitcnt vmcnt(0)
	v_fma_f32 v1, s28, v1, v0
	global_store_dword v[8:9], v1, off
.LBB13_20:                              ;   in Loop: Header=BB13_8 Depth=1
	s_andn2_b64 vcc, exec, s[22:23]
	s_cbranch_vccnz .LBB13_22
; %bb.21:                               ;   in Loop: Header=BB13_8 Depth=1
	global_load_dword v1, v[10:11], off
	s_waitcnt vmcnt(0)
	v_fma_f32 v1, s28, v1, v0
	global_store_dword v[10:11], v1, off
.LBB13_22:                              ;   in Loop: Header=BB13_8 Depth=1
	s_mov_b64 s[22:23], 0
.LBB13_23:                              ;   in Loop: Header=BB13_8 Depth=1
	s_andn2_b64 vcc, exec, s[22:23]
	s_cbranch_vccnz .LBB13_7
; %bb.24:                               ;   in Loop: Header=BB13_8 Depth=1
	s_mov_b64 s[22:23], -1
	s_and_b64 vcc, exec, s[4:5]
	s_cbranch_vccz .LBB13_26
; %bb.25:                               ;   in Loop: Header=BB13_8 Depth=1
	global_store_dword v[8:9], v0, off
	s_mov_b64 s[22:23], 0
.LBB13_26:                              ;   in Loop: Header=BB13_8 Depth=1
	s_andn2_b64 vcc, exec, s[22:23]
	s_cbranch_vccnz .LBB13_7
; %bb.27:                               ;   in Loop: Header=BB13_8 Depth=1
	global_store_dword v[10:11], v0, off
	s_branch .LBB13_7
.LBB13_28:
	s_endpgm
	.section	.rodata,"a",@progbits
	.p2align	6, 0x0
	.amdhsa_kernel _ZN9rocsparseL29bsrmmnn_small_blockdim_kernelILj64ELj8ELj2EliDF16_DF16_ffEEv20rocsparse_direction_T3_S2_llNS_24const_host_device_scalarIT7_EEPKT2_PKS2_PKT4_PKT5_llS5_PT6_ll16rocsparse_order_21rocsparse_index_base_b
		.amdhsa_group_segment_fixed_size 640
		.amdhsa_private_segment_fixed_size 0
		.amdhsa_kernarg_size 392
		.amdhsa_user_sgpr_count 6
		.amdhsa_user_sgpr_private_segment_buffer 1
		.amdhsa_user_sgpr_dispatch_ptr 0
		.amdhsa_user_sgpr_queue_ptr 0
		.amdhsa_user_sgpr_kernarg_segment_ptr 1
		.amdhsa_user_sgpr_dispatch_id 0
		.amdhsa_user_sgpr_flat_scratch_init 0
		.amdhsa_user_sgpr_kernarg_preload_length 0
		.amdhsa_user_sgpr_kernarg_preload_offset 0
		.amdhsa_user_sgpr_private_segment_size 0
		.amdhsa_uses_dynamic_stack 0
		.amdhsa_system_sgpr_private_segment_wavefront_offset 0
		.amdhsa_system_sgpr_workgroup_id_x 1
		.amdhsa_system_sgpr_workgroup_id_y 1
		.amdhsa_system_sgpr_workgroup_id_z 0
		.amdhsa_system_sgpr_workgroup_info 0
		.amdhsa_system_vgpr_workitem_id 0
		.amdhsa_next_free_vgpr 52
		.amdhsa_next_free_sgpr 30
		.amdhsa_accum_offset 52
		.amdhsa_reserve_vcc 1
		.amdhsa_reserve_flat_scratch 0
		.amdhsa_float_round_mode_32 0
		.amdhsa_float_round_mode_16_64 0
		.amdhsa_float_denorm_mode_32 3
		.amdhsa_float_denorm_mode_16_64 3
		.amdhsa_dx10_clamp 1
		.amdhsa_ieee_mode 1
		.amdhsa_fp16_overflow 0
		.amdhsa_tg_split 0
		.amdhsa_exception_fp_ieee_invalid_op 0
		.amdhsa_exception_fp_denorm_src 0
		.amdhsa_exception_fp_ieee_div_zero 0
		.amdhsa_exception_fp_ieee_overflow 0
		.amdhsa_exception_fp_ieee_underflow 0
		.amdhsa_exception_fp_ieee_inexact 0
		.amdhsa_exception_int_div_zero 0
	.end_amdhsa_kernel
	.section	.text._ZN9rocsparseL29bsrmmnn_small_blockdim_kernelILj64ELj8ELj2EliDF16_DF16_ffEEv20rocsparse_direction_T3_S2_llNS_24const_host_device_scalarIT7_EEPKT2_PKS2_PKT4_PKT5_llS5_PT6_ll16rocsparse_order_21rocsparse_index_base_b,"axG",@progbits,_ZN9rocsparseL29bsrmmnn_small_blockdim_kernelILj64ELj8ELj2EliDF16_DF16_ffEEv20rocsparse_direction_T3_S2_llNS_24const_host_device_scalarIT7_EEPKT2_PKS2_PKT4_PKT5_llS5_PT6_ll16rocsparse_order_21rocsparse_index_base_b,comdat
.Lfunc_end13:
	.size	_ZN9rocsparseL29bsrmmnn_small_blockdim_kernelILj64ELj8ELj2EliDF16_DF16_ffEEv20rocsparse_direction_T3_S2_llNS_24const_host_device_scalarIT7_EEPKT2_PKS2_PKT4_PKT5_llS5_PT6_ll16rocsparse_order_21rocsparse_index_base_b, .Lfunc_end13-_ZN9rocsparseL29bsrmmnn_small_blockdim_kernelILj64ELj8ELj2EliDF16_DF16_ffEEv20rocsparse_direction_T3_S2_llNS_24const_host_device_scalarIT7_EEPKT2_PKS2_PKT4_PKT5_llS5_PT6_ll16rocsparse_order_21rocsparse_index_base_b
                                        ; -- End function
	.section	.AMDGPU.csdata,"",@progbits
; Kernel info:
; codeLenInByte = 1616
; NumSgprs: 34
; NumVgprs: 52
; NumAgprs: 0
; TotalNumVgprs: 52
; ScratchSize: 0
; MemoryBound: 0
; FloatMode: 240
; IeeeMode: 1
; LDSByteSize: 640 bytes/workgroup (compile time only)
; SGPRBlocks: 4
; VGPRBlocks: 6
; NumSGPRsForWavesPerEU: 34
; NumVGPRsForWavesPerEU: 52
; AccumOffset: 52
; Occupancy: 8
; WaveLimiterHint : 0
; COMPUTE_PGM_RSRC2:SCRATCH_EN: 0
; COMPUTE_PGM_RSRC2:USER_SGPR: 6
; COMPUTE_PGM_RSRC2:TRAP_HANDLER: 0
; COMPUTE_PGM_RSRC2:TGID_X_EN: 1
; COMPUTE_PGM_RSRC2:TGID_Y_EN: 1
; COMPUTE_PGM_RSRC2:TGID_Z_EN: 0
; COMPUTE_PGM_RSRC2:TIDIG_COMP_CNT: 0
; COMPUTE_PGM_RSRC3_GFX90A:ACCUM_OFFSET: 12
; COMPUTE_PGM_RSRC3_GFX90A:TG_SPLIT: 0
	.section	.text._ZN9rocsparseL29bsrmmnn_small_blockdim_kernelILj64ELj8ELj2EllDF16_DF16_ffEEv20rocsparse_direction_T3_S2_llNS_24const_host_device_scalarIT7_EEPKT2_PKS2_PKT4_PKT5_llS5_PT6_ll16rocsparse_order_21rocsparse_index_base_b,"axG",@progbits,_ZN9rocsparseL29bsrmmnn_small_blockdim_kernelILj64ELj8ELj2EllDF16_DF16_ffEEv20rocsparse_direction_T3_S2_llNS_24const_host_device_scalarIT7_EEPKT2_PKS2_PKT4_PKT5_llS5_PT6_ll16rocsparse_order_21rocsparse_index_base_b,comdat
	.globl	_ZN9rocsparseL29bsrmmnn_small_blockdim_kernelILj64ELj8ELj2EllDF16_DF16_ffEEv20rocsparse_direction_T3_S2_llNS_24const_host_device_scalarIT7_EEPKT2_PKS2_PKT4_PKT5_llS5_PT6_ll16rocsparse_order_21rocsparse_index_base_b ; -- Begin function _ZN9rocsparseL29bsrmmnn_small_blockdim_kernelILj64ELj8ELj2EllDF16_DF16_ffEEv20rocsparse_direction_T3_S2_llNS_24const_host_device_scalarIT7_EEPKT2_PKS2_PKT4_PKT5_llS5_PT6_ll16rocsparse_order_21rocsparse_index_base_b
	.p2align	8
	.type	_ZN9rocsparseL29bsrmmnn_small_blockdim_kernelILj64ELj8ELj2EllDF16_DF16_ffEEv20rocsparse_direction_T3_S2_llNS_24const_host_device_scalarIT7_EEPKT2_PKS2_PKT4_PKT5_llS5_PT6_ll16rocsparse_order_21rocsparse_index_base_b,@function
_ZN9rocsparseL29bsrmmnn_small_blockdim_kernelILj64ELj8ELj2EllDF16_DF16_ffEEv20rocsparse_direction_T3_S2_llNS_24const_host_device_scalarIT7_EEPKT2_PKS2_PKT4_PKT5_llS5_PT6_ll16rocsparse_order_21rocsparse_index_base_b: ; @_ZN9rocsparseL29bsrmmnn_small_blockdim_kernelILj64ELj8ELj2EllDF16_DF16_ffEEv20rocsparse_direction_T3_S2_llNS_24const_host_device_scalarIT7_EEPKT2_PKS2_PKT4_PKT5_llS5_PT6_ll16rocsparse_order_21rocsparse_index_base_b
; %bb.0:
	s_load_dwordx4 s[20:23], s[4:5], 0x80
	s_load_dwordx2 s[2:3], s[4:5], 0x28
	s_load_dwordx2 s[28:29], s[4:5], 0x60
	s_waitcnt lgkmcnt(0)
	s_bitcmp1_b32 s22, 0
	s_cselect_b64 s[8:9], -1, 0
	s_xor_b64 s[0:1], s[8:9], -1
	s_and_b64 vcc, exec, s[8:9]
	s_cbranch_vccnz .LBB14_2
; %bb.1:
	s_load_dword s2, s[2:3], 0x0
.LBB14_2:
	s_andn2_b64 vcc, exec, s[0:1]
	s_cbranch_vccnz .LBB14_4
; %bb.3:
	s_load_dword s28, s[28:29], 0x0
.LBB14_4:
	s_waitcnt lgkmcnt(0)
	v_cmp_eq_f32_e64 s[0:1], s2, 0
	v_cmp_eq_f32_e64 s[8:9], s28, 1.0
	s_and_b64 s[0:1], s[0:1], s[8:9]
	s_and_b64 vcc, exec, s[0:1]
	s_cbranch_vccnz .LBB14_28
; %bb.5:
	s_load_dword s0, s[4:5], 0x90
	s_load_dwordx4 s[16:19], s[4:5], 0x8
	s_add_u32 s1, s4, 0x90
	s_addc_u32 s3, s5, 0
	v_mov_b32_e32 v5, 0
	s_waitcnt lgkmcnt(0)
	s_cmp_lt_u32 s6, s0
	s_cselect_b32 s8, 12, 18
	s_add_u32 s8, s1, s8
	s_addc_u32 s9, s3, 0
	global_load_ushort v2, v5, s[8:9]
	s_mov_b32 s3, 0
	s_waitcnt vmcnt(0)
	v_mul_lo_u32 v1, s6, v2
	v_add_u32_e32 v1, v1, v0
	v_lshrrev_b32_e32 v4, 4, v1
	v_cmp_gt_i64_e32 vcc, s[16:17], v[4:5]
	s_and_saveexec_b64 s[8:9], vcc
	s_cbranch_execz .LBB14_28
; %bb.6:
	s_load_dwordx8 s[8:15], s[4:5], 0x30
	s_load_dwordx4 s[24:27], s[4:5], 0x68
	s_load_dwordx2 s[22:23], s[4:5], 0x50
	v_and_b32_e32 v6, 7, v1
	v_mul_lo_u32 v2, s0, v2
	v_lshrrev_b32_e32 v7, 4, v2
	v_lshl_or_b32 v2, s7, 3, v6
	s_waitcnt lgkmcnt(0)
	v_mad_u64_u32 v[12:13], s[0:1], v2, s22, 0
	v_mov_b32_e32 v8, v13
	v_mad_u64_u32 v[8:9], s[0:1], v2, s23, v[8:9]
	v_mov_b32_e32 v3, v5
	s_load_dword s0, s[4:5], 0x0
	v_mov_b32_e32 v13, v8
	v_lshrrev_b32_e32 v11, 3, v1
	v_bfe_u32 v14, v1, 3, 1
	v_lshrrev_b32_e32 v8, 3, v0
	v_lshlrev_b64 v[0:1], 2, v[2:3]
	v_mov_b32_e32 v16, s25
	v_add_co_u32_e32 v10, vcc, s24, v0
	v_addc_co_u32_e32 v17, vcc, v16, v1, vcc
	v_mul_u32_u24_e32 v1, 48, v8
	s_cmp_lg_u32 s20, 1
	v_mul_u32_u24_e32 v0, 3, v6
	v_or_b32_e32 v22, 0x200, v1
	s_cselect_b64 s[4:5], -1, 0
	s_waitcnt lgkmcnt(0)
	s_cmp_eq_u32 s0, 0
	v_lshl_add_u32 v23, v0, 1, v22
	v_cmp_gt_i64_e64 s[0:1], s[18:19], v[2:3]
	v_mad_u64_u32 v[0:1], s[18:19], v11, s26, 0
	v_lshlrev_b32_e32 v20, 6, v8
	v_mov_b32_e32 v8, v1
	v_mad_u64_u32 v[8:9], s[18:19], v11, s27, v[8:9]
	v_mov_b32_e32 v1, v8
	v_lshlrev_b64 v[0:1], 2, v[0:1]
	v_add_co_u32_e32 v8, vcc, v10, v0
	v_addc_co_u32_e32 v9, vcc, v17, v1, vcc
	v_mad_u64_u32 v[0:1], s[18:19], v2, s26, 0
	v_mov_b32_e32 v10, v1
	v_mad_u64_u32 v[2:3], s[18:19], v2, s27, v[10:11]
	v_mov_b32_e32 v1, v2
	v_lshlrev_b32_e32 v2, 2, v11
	v_add_co_u32_e32 v2, vcc, s24, v2
	v_addc_co_u32_e32 v3, vcc, 0, v16, vcc
	v_lshlrev_b64 v[0:1], 2, v[0:1]
	v_add_co_u32_e32 v10, vcc, v2, v0
	v_addc_co_u32_e32 v11, vcc, v3, v1, vcc
	s_cselect_b64 s[18:19], -1, 0
	v_lshlrev_b64 v[2:3], 1, v[12:13]
	v_mov_b32_e32 v15, v5
	v_cndmask_b32_e64 v0, 0, 1, s[18:19]
	v_mov_b32_e32 v12, s15
	v_add_co_u32_e32 v24, vcc, s14, v2
	v_lshlrev_b64 v[0:1], v0, v[14:15]
	v_addc_co_u32_e32 v25, vcc, v12, v3, vcc
	v_subrev_co_u32_e32 v26, vcc, s21, v6
	v_lshlrev_b64 v[2:3], 1, v[0:1]
	s_and_b64 s[18:19], s[18:19], exec
	v_subb_co_u32_e64 v27, s[14:15], 0, 0, vcc
	v_mov_b32_e32 v12, s13
	v_add_co_u32_e32 v28, vcc, s12, v2
	s_cselect_b32 s18, 1, 2
	v_addc_co_u32_e32 v29, vcc, v12, v3, vcc
	v_add_co_u32_e32 v30, vcc, s18, v0
	s_mov_b32 s25, s21
	v_lshl_or_b32 v21, v6, 3, v20
	v_cmp_neq_f32_e64 s[6:7], s28, 0
	v_addc_co_u32_e32 v31, vcc, 0, v1, vcc
	s_mov_b64 s[14:15], 0
	s_mov_b32 s24, 0x5040100
	s_branch .LBB14_8
.LBB14_7:                               ;   in Loop: Header=BB14_8 Depth=1
	s_or_b64 exec, exec, s[18:19]
	v_add_co_u32_e32 v4, vcc, v4, v7
	v_addc_co_u32_e32 v5, vcc, 0, v5, vcc
	v_cmp_le_i64_e32 vcc, s[16:17], v[4:5]
	s_or_b64 s[14:15], vcc, s[14:15]
	s_andn2_b64 exec, exec, s[14:15]
	s_cbranch_execz .LBB14_28
.LBB14_8:                               ; =>This Loop Header: Depth=1
                                        ;     Child Loop BB14_11 Depth 2
	v_lshlrev_b64 v[0:1], 3, v[4:5]
	v_mov_b32_e32 v2, s9
	v_add_co_u32_e32 v0, vcc, s8, v0
	v_addc_co_u32_e32 v1, vcc, v2, v1, vcc
	global_load_dwordx4 v[0:3], v[0:1], off
	v_mov_b32_e32 v32, 0
	s_waitcnt vmcnt(0)
	v_cmp_lt_i64_e32 vcc, v[0:1], v[2:3]
	s_and_saveexec_b64 s[18:19], vcc
	s_cbranch_execz .LBB14_16
; %bb.9:                                ;   in Loop: Header=BB14_8 Depth=1
	v_mov_b32_e32 v13, s3
	v_subrev_co_u32_e32 v2, vcc, s25, v2
	v_subb_co_u32_e32 v3, vcc, v3, v13, vcc
	v_subrev_co_u32_e32 v12, vcc, s25, v0
	v_subb_co_u32_e32 v13, vcc, v1, v13, vcc
	v_add_co_u32_e32 v16, vcc, v26, v0
	v_addc_co_u32_e32 v17, vcc, v27, v1, vcc
	v_lshlrev_b64 v[14:15], 3, v[16:17]
	v_mov_b32_e32 v1, s11
	v_add_co_u32_e32 v0, vcc, s10, v14
	v_addc_co_u32_e32 v1, vcc, v1, v15, vcc
	v_add_co_u32_e32 v14, vcc, v28, v14
	v_addc_co_u32_e32 v15, vcc, v29, v15, vcc
	v_lshlrev_b64 v[16:17], 2, v[16:17]
	v_add_co_u32_e32 v16, vcc, v30, v16
	v_addc_co_u32_e32 v17, vcc, v31, v17, vcc
	v_lshlrev_b64 v[16:17], 1, v[16:17]
	v_mov_b32_e32 v18, s13
	v_add_co_u32_e32 v16, vcc, s12, v16
	v_addc_co_u32_e32 v17, vcc, v18, v17, vcc
	s_mov_b64 s[20:21], 0
	v_mov_b32_e32 v32, 0
	s_branch .LBB14_11
.LBB14_10:                              ;   in Loop: Header=BB14_11 Depth=2
	s_or_b64 exec, exec, s[22:23]
	v_add_co_u32_e32 v12, vcc, 8, v12
	v_addc_co_u32_e32 v13, vcc, 0, v13, vcc
	v_add_co_u32_e32 v0, vcc, 64, v0
	v_addc_co_u32_e32 v1, vcc, 0, v1, vcc
	;; [unrolled: 2-line block ×3, first 2 shown]
	v_cmp_ge_i64_e32 vcc, v[12:13], v[2:3]
	s_or_b64 s[20:21], vcc, s[20:21]
	v_add_co_u32_e32 v16, vcc, 64, v16
	v_addc_co_u32_e32 v17, vcc, 0, v17, vcc
	s_andn2_b64 exec, exec, s[20:21]
	s_cbranch_execz .LBB14_15
.LBB14_11:                              ;   Parent Loop BB14_8 Depth=1
                                        ; =>  This Inner Loop Header: Depth=2
	v_add_co_u32_e32 v18, vcc, v6, v12
	v_addc_co_u32_e32 v19, vcc, 0, v13, vcc
	v_cmp_lt_i64_e32 vcc, v[18:19], v[2:3]
	v_pk_mov_b32 v[18:19], 0, 0
	v_mov_b32_e32 v33, 0
	s_and_saveexec_b64 s[22:23], vcc
	s_cbranch_execz .LBB14_13
; %bb.12:                               ;   in Loop: Header=BB14_11 Depth=2
	global_load_dwordx2 v[18:19], v[0:1], off
	global_load_ushort v33, v[14:15], off
	global_load_ushort v34, v[16:17], off
	v_mov_b32_e32 v35, s3
	s_waitcnt vmcnt(2)
	v_subrev_co_u32_e32 v18, vcc, s25, v18
	v_subb_co_u32_e32 v19, vcc, v19, v35, vcc
	v_lshlrev_b64 v[18:19], 1, v[18:19]
	s_waitcnt vmcnt(0)
	v_perm_b32 v33, v34, v33, s24
.LBB14_13:                              ;   in Loop: Header=BB14_11 Depth=2
	s_or_b64 exec, exec, s[22:23]
	ds_write_b64 v21, v[18:19]
	ds_write_b32 v23, v33
	s_waitcnt lgkmcnt(0)
	; wave barrier
	s_waitcnt lgkmcnt(0)
	s_and_saveexec_b64 s[22:23], s[0:1]
	s_cbranch_execz .LBB14_10
; %bb.14:                               ;   in Loop: Header=BB14_11 Depth=2
	ds_read_b128 v[34:37], v20
	ds_read_b128 v[38:41], v20 offset:16
	ds_read_b128 v[42:45], v20 offset:32
	;; [unrolled: 1-line block ×3, first 2 shown]
	s_waitcnt lgkmcnt(3)
	v_lshlrev_b64 v[18:19], 1, v[34:35]
	v_add_co_u32_e32 v18, vcc, v24, v18
	v_addc_co_u32_e32 v19, vcc, v25, v19, vcc
	v_lshlrev_b64 v[34:35], 1, v[36:37]
	v_add_co_u32_e32 v34, vcc, v24, v34
	v_addc_co_u32_e32 v35, vcc, v25, v35, vcc
	s_waitcnt lgkmcnt(2)
	v_lshlrev_b64 v[36:37], 1, v[38:39]
	v_add_co_u32_e32 v36, vcc, v24, v36
	v_addc_co_u32_e32 v37, vcc, v25, v37, vcc
	v_lshlrev_b64 v[38:39], 1, v[40:41]
	v_add_co_u32_e32 v38, vcc, v24, v38
	v_addc_co_u32_e32 v39, vcc, v25, v39, vcc
	;; [unrolled: 7-line block ×3, first 2 shown]
	global_load_dword v33, v[18:19], off
	global_load_dword v44, v[34:35], off
	;; [unrolled: 1-line block ×6, first 2 shown]
	s_waitcnt lgkmcnt(0)
	v_lshlrev_b64 v[18:19], 1, v[46:47]
	v_add_co_u32_e32 v18, vcc, v24, v18
	v_addc_co_u32_e32 v19, vcc, v25, v19, vcc
	v_lshlrev_b64 v[34:35], 1, v[48:49]
	v_add_co_u32_e32 v34, vcc, v24, v34
	v_addc_co_u32_e32 v35, vcc, v25, v35, vcc
	global_load_dword v36, v[18:19], off
	global_load_dword v37, v[34:35], off
	ds_read2_b32 v[18:19], v22 offset1:3
	ds_read2_b32 v[34:35], v22 offset0:6 offset1:9
	ds_read_u16 v38, v22 offset:6
	ds_read_u16 v39, v22 offset:8
	;; [unrolled: 1-line block ×8, first 2 shown]
	s_waitcnt vmcnt(7) lgkmcnt(9)
	v_dot2c_f32_f16_e32 v32, v18, v33
	s_waitcnt vmcnt(6) lgkmcnt(7)
	s_nop 1
	v_fma_mix_f32 v18, v38, v44, v32 op_sel_hi:[1,1,0]
	s_waitcnt lgkmcnt(6)
	v_fma_mix_f32 v18, v39, v44, v18 op_sel:[0,1,0] op_sel_hi:[1,1,0]
	s_waitcnt vmcnt(5)
	v_dot2c_f32_f16_e32 v18, v19, v45
	s_waitcnt vmcnt(4) lgkmcnt(5)
	s_nop 1
	v_fma_mix_f32 v18, v40, v50, v18 op_sel_hi:[1,1,0]
	s_waitcnt lgkmcnt(4)
	v_fma_mix_f32 v18, v41, v50, v18 op_sel:[0,1,0] op_sel_hi:[1,1,0]
	s_waitcnt vmcnt(3)
	;; [unrolled: 7-line block ×3, first 2 shown]
	v_dot2c_f32_f16_e32 v18, v35, v36
	s_waitcnt vmcnt(0) lgkmcnt(1)
	s_nop 1
	v_fma_mix_f32 v18, v46, v37, v18 op_sel_hi:[1,1,0]
	s_waitcnt lgkmcnt(0)
	v_fma_mix_f32 v32, v47, v37, v18 op_sel:[0,1,0] op_sel_hi:[1,1,0]
	s_branch .LBB14_10
.LBB14_15:                              ;   in Loop: Header=BB14_8 Depth=1
	s_or_b64 exec, exec, s[20:21]
.LBB14_16:                              ;   in Loop: Header=BB14_8 Depth=1
	s_or_b64 exec, exec, s[18:19]
	s_and_saveexec_b64 s[18:19], s[0:1]
	s_cbranch_execz .LBB14_7
; %bb.17:                               ;   in Loop: Header=BB14_8 Depth=1
	v_mul_f32_e32 v0, s2, v32
	s_mov_b64 s[20:21], -1
	s_and_b64 vcc, exec, s[6:7]
	s_cbranch_vccz .LBB14_23
; %bb.18:                               ;   in Loop: Header=BB14_8 Depth=1
	s_and_b64 vcc, exec, s[4:5]
	s_cbranch_vccz .LBB14_20
; %bb.19:                               ;   in Loop: Header=BB14_8 Depth=1
	global_load_dword v1, v[8:9], off
	s_mov_b64 s[20:21], 0
	s_waitcnt vmcnt(0)
	v_fma_f32 v1, s28, v1, v0
	global_store_dword v[8:9], v1, off
.LBB14_20:                              ;   in Loop: Header=BB14_8 Depth=1
	s_andn2_b64 vcc, exec, s[20:21]
	s_cbranch_vccnz .LBB14_22
; %bb.21:                               ;   in Loop: Header=BB14_8 Depth=1
	global_load_dword v1, v[10:11], off
	s_waitcnt vmcnt(0)
	v_fma_f32 v1, s28, v1, v0
	global_store_dword v[10:11], v1, off
.LBB14_22:                              ;   in Loop: Header=BB14_8 Depth=1
	s_mov_b64 s[20:21], 0
.LBB14_23:                              ;   in Loop: Header=BB14_8 Depth=1
	s_andn2_b64 vcc, exec, s[20:21]
	s_cbranch_vccnz .LBB14_7
; %bb.24:                               ;   in Loop: Header=BB14_8 Depth=1
	s_mov_b64 s[20:21], -1
	s_and_b64 vcc, exec, s[4:5]
	s_cbranch_vccz .LBB14_26
; %bb.25:                               ;   in Loop: Header=BB14_8 Depth=1
	global_store_dword v[8:9], v0, off
	s_mov_b64 s[20:21], 0
.LBB14_26:                              ;   in Loop: Header=BB14_8 Depth=1
	s_andn2_b64 vcc, exec, s[20:21]
	s_cbranch_vccnz .LBB14_7
; %bb.27:                               ;   in Loop: Header=BB14_8 Depth=1
	global_store_dword v[10:11], v0, off
	s_branch .LBB14_7
.LBB14_28:
	s_endpgm
	.section	.rodata,"a",@progbits
	.p2align	6, 0x0
	.amdhsa_kernel _ZN9rocsparseL29bsrmmnn_small_blockdim_kernelILj64ELj8ELj2EllDF16_DF16_ffEEv20rocsparse_direction_T3_S2_llNS_24const_host_device_scalarIT7_EEPKT2_PKS2_PKT4_PKT5_llS5_PT6_ll16rocsparse_order_21rocsparse_index_base_b
		.amdhsa_group_segment_fixed_size 896
		.amdhsa_private_segment_fixed_size 0
		.amdhsa_kernarg_size 400
		.amdhsa_user_sgpr_count 6
		.amdhsa_user_sgpr_private_segment_buffer 1
		.amdhsa_user_sgpr_dispatch_ptr 0
		.amdhsa_user_sgpr_queue_ptr 0
		.amdhsa_user_sgpr_kernarg_segment_ptr 1
		.amdhsa_user_sgpr_dispatch_id 0
		.amdhsa_user_sgpr_flat_scratch_init 0
		.amdhsa_user_sgpr_kernarg_preload_length 0
		.amdhsa_user_sgpr_kernarg_preload_offset 0
		.amdhsa_user_sgpr_private_segment_size 0
		.amdhsa_uses_dynamic_stack 0
		.amdhsa_system_sgpr_private_segment_wavefront_offset 0
		.amdhsa_system_sgpr_workgroup_id_x 1
		.amdhsa_system_sgpr_workgroup_id_y 1
		.amdhsa_system_sgpr_workgroup_id_z 0
		.amdhsa_system_sgpr_workgroup_info 0
		.amdhsa_system_vgpr_workitem_id 0
		.amdhsa_next_free_vgpr 53
		.amdhsa_next_free_sgpr 30
		.amdhsa_accum_offset 56
		.amdhsa_reserve_vcc 1
		.amdhsa_reserve_flat_scratch 0
		.amdhsa_float_round_mode_32 0
		.amdhsa_float_round_mode_16_64 0
		.amdhsa_float_denorm_mode_32 3
		.amdhsa_float_denorm_mode_16_64 3
		.amdhsa_dx10_clamp 1
		.amdhsa_ieee_mode 1
		.amdhsa_fp16_overflow 0
		.amdhsa_tg_split 0
		.amdhsa_exception_fp_ieee_invalid_op 0
		.amdhsa_exception_fp_denorm_src 0
		.amdhsa_exception_fp_ieee_div_zero 0
		.amdhsa_exception_fp_ieee_overflow 0
		.amdhsa_exception_fp_ieee_underflow 0
		.amdhsa_exception_fp_ieee_inexact 0
		.amdhsa_exception_int_div_zero 0
	.end_amdhsa_kernel
	.section	.text._ZN9rocsparseL29bsrmmnn_small_blockdim_kernelILj64ELj8ELj2EllDF16_DF16_ffEEv20rocsparse_direction_T3_S2_llNS_24const_host_device_scalarIT7_EEPKT2_PKS2_PKT4_PKT5_llS5_PT6_ll16rocsparse_order_21rocsparse_index_base_b,"axG",@progbits,_ZN9rocsparseL29bsrmmnn_small_blockdim_kernelILj64ELj8ELj2EllDF16_DF16_ffEEv20rocsparse_direction_T3_S2_llNS_24const_host_device_scalarIT7_EEPKT2_PKS2_PKT4_PKT5_llS5_PT6_ll16rocsparse_order_21rocsparse_index_base_b,comdat
.Lfunc_end14:
	.size	_ZN9rocsparseL29bsrmmnn_small_blockdim_kernelILj64ELj8ELj2EllDF16_DF16_ffEEv20rocsparse_direction_T3_S2_llNS_24const_host_device_scalarIT7_EEPKT2_PKS2_PKT4_PKT5_llS5_PT6_ll16rocsparse_order_21rocsparse_index_base_b, .Lfunc_end14-_ZN9rocsparseL29bsrmmnn_small_blockdim_kernelILj64ELj8ELj2EllDF16_DF16_ffEEv20rocsparse_direction_T3_S2_llNS_24const_host_device_scalarIT7_EEPKT2_PKS2_PKT4_PKT5_llS5_PT6_ll16rocsparse_order_21rocsparse_index_base_b
                                        ; -- End function
	.section	.AMDGPU.csdata,"",@progbits
; Kernel info:
; codeLenInByte = 1592
; NumSgprs: 34
; NumVgprs: 53
; NumAgprs: 0
; TotalNumVgprs: 53
; ScratchSize: 0
; MemoryBound: 0
; FloatMode: 240
; IeeeMode: 1
; LDSByteSize: 896 bytes/workgroup (compile time only)
; SGPRBlocks: 4
; VGPRBlocks: 6
; NumSGPRsForWavesPerEU: 34
; NumVGPRsForWavesPerEU: 53
; AccumOffset: 56
; Occupancy: 8
; WaveLimiterHint : 1
; COMPUTE_PGM_RSRC2:SCRATCH_EN: 0
; COMPUTE_PGM_RSRC2:USER_SGPR: 6
; COMPUTE_PGM_RSRC2:TRAP_HANDLER: 0
; COMPUTE_PGM_RSRC2:TGID_X_EN: 1
; COMPUTE_PGM_RSRC2:TGID_Y_EN: 1
; COMPUTE_PGM_RSRC2:TGID_Z_EN: 0
; COMPUTE_PGM_RSRC2:TIDIG_COMP_CNT: 0
; COMPUTE_PGM_RSRC3_GFX90A:ACCUM_OFFSET: 13
; COMPUTE_PGM_RSRC3_GFX90A:TG_SPLIT: 0
	.section	.text._ZN9rocsparseL29bsrmmnn_small_blockdim_kernelILj64ELj8ELj2EiiaaiiEEv20rocsparse_direction_T3_S2_llNS_24const_host_device_scalarIT7_EEPKT2_PKS2_PKT4_PKT5_llS5_PT6_ll16rocsparse_order_21rocsparse_index_base_b,"axG",@progbits,_ZN9rocsparseL29bsrmmnn_small_blockdim_kernelILj64ELj8ELj2EiiaaiiEEv20rocsparse_direction_T3_S2_llNS_24const_host_device_scalarIT7_EEPKT2_PKS2_PKT4_PKT5_llS5_PT6_ll16rocsparse_order_21rocsparse_index_base_b,comdat
	.globl	_ZN9rocsparseL29bsrmmnn_small_blockdim_kernelILj64ELj8ELj2EiiaaiiEEv20rocsparse_direction_T3_S2_llNS_24const_host_device_scalarIT7_EEPKT2_PKS2_PKT4_PKT5_llS5_PT6_ll16rocsparse_order_21rocsparse_index_base_b ; -- Begin function _ZN9rocsparseL29bsrmmnn_small_blockdim_kernelILj64ELj8ELj2EiiaaiiEEv20rocsparse_direction_T3_S2_llNS_24const_host_device_scalarIT7_EEPKT2_PKS2_PKT4_PKT5_llS5_PT6_ll16rocsparse_order_21rocsparse_index_base_b
	.p2align	8
	.type	_ZN9rocsparseL29bsrmmnn_small_blockdim_kernelILj64ELj8ELj2EiiaaiiEEv20rocsparse_direction_T3_S2_llNS_24const_host_device_scalarIT7_EEPKT2_PKS2_PKT4_PKT5_llS5_PT6_ll16rocsparse_order_21rocsparse_index_base_b,@function
_ZN9rocsparseL29bsrmmnn_small_blockdim_kernelILj64ELj8ELj2EiiaaiiEEv20rocsparse_direction_T3_S2_llNS_24const_host_device_scalarIT7_EEPKT2_PKS2_PKT4_PKT5_llS5_PT6_ll16rocsparse_order_21rocsparse_index_base_b: ; @_ZN9rocsparseL29bsrmmnn_small_blockdim_kernelILj64ELj8ELj2EiiaaiiEEv20rocsparse_direction_T3_S2_llNS_24const_host_device_scalarIT7_EEPKT2_PKS2_PKT4_PKT5_llS5_PT6_ll16rocsparse_order_21rocsparse_index_base_b
; %bb.0:
	s_load_dwordx4 s[16:19], s[4:5], 0x78
	s_load_dwordx2 s[8:9], s[4:5], 0x20
	s_mov_b64 s[10:11], -1
                                        ; implicit-def: $sgpr28
	s_waitcnt lgkmcnt(0)
	s_bitcmp1_b32 s18, 0
	s_cselect_b64 s[0:1], -1, 0
	s_xor_b64 s[2:3], s[0:1], -1
	s_and_b64 vcc, exec, s[2:3]
	s_cbranch_vccnz .LBB15_4
; %bb.1:
	s_load_dwordx2 s[0:1], s[4:5], 0x58
	s_andn2_b64 vcc, exec, s[10:11]
	s_cbranch_vccz .LBB15_5
.LBB15_2:
	s_and_b64 vcc, exec, s[2:3]
	s_cbranch_vccz .LBB15_6
.LBB15_3:
	s_waitcnt lgkmcnt(0)
	s_load_dword s29, s[0:1], 0x0
	s_cbranch_execz .LBB15_7
	s_branch .LBB15_8
.LBB15_4:
	s_load_dword s28, s[8:9], 0x0
	s_load_dwordx2 s[0:1], s[4:5], 0x58
	s_cbranch_execnz .LBB15_2
.LBB15_5:
	s_waitcnt lgkmcnt(0)
	s_mov_b32 s28, s8
	s_and_b64 vcc, exec, s[2:3]
	s_cbranch_vccnz .LBB15_3
.LBB15_6:
                                        ; implicit-def: $sgpr29
.LBB15_7:
	s_waitcnt lgkmcnt(0)
	s_mov_b32 s29, s0
.LBB15_8:
	s_waitcnt lgkmcnt(0)
	s_cmp_eq_u32 s28, 0
	s_cselect_b64 s[0:1], -1, 0
	s_cmp_eq_u32 s29, 1
	s_cselect_b64 s[2:3], -1, 0
	s_and_b64 s[0:1], s[0:1], s[2:3]
	s_and_b64 vcc, exec, s[0:1]
	s_cbranch_vccnz .LBB15_32
; %bb.9:
	s_load_dword s0, s[4:5], 0x88
	s_load_dwordx4 s[20:23], s[4:5], 0x0
	s_add_u32 s1, s4, 0x88
	s_addc_u32 s3, s5, 0
	v_mov_b32_e32 v3, 0
	s_waitcnt lgkmcnt(0)
	s_cmp_lt_u32 s6, s0
	s_cselect_b32 s2, 12, 18
	s_add_u32 s2, s1, s2
	s_addc_u32 s3, s3, 0
	global_load_ushort v4, v3, s[2:3]
	s_waitcnt vmcnt(0)
	v_mul_lo_u32 v1, s6, v4
	v_add_u32_e32 v1, v1, v0
	v_lshrrev_b32_e32 v2, 4, v1
	v_cmp_gt_i32_e32 vcc, s21, v2
	s_and_saveexec_b64 s[2:3], vcc
	s_cbranch_execz .LBB15_32
; %bb.10:
	s_load_dwordx8 s[8:15], s[4:5], 0x28
	v_and_b32_e32 v10, 7, v1
	s_load_dwordx4 s[24:27], s[4:5], 0x60
	s_load_dwordx2 s[18:19], s[4:5], 0x48
	v_lshl_or_b32 v6, s7, 3, v10
	v_mul_lo_u32 v4, s0, v4
	v_ashrrev_i32_e32 v7, 31, v6
	v_lshrrev_b32_e32 v11, 4, v4
	v_lshrrev_b32_e32 v16, 3, v1
	v_bfe_u32 v17, v1, 3, 1
	v_lshrrev_b32_e32 v4, 3, v0
	v_lshlrev_b64 v[0:1], 2, v[6:7]
	s_waitcnt lgkmcnt(0)
	v_mov_b32_e32 v18, s25
	v_add_co_u32_e32 v19, vcc, s24, v0
	v_mul_u32_u24_e32 v0, 24, v4
	v_addc_co_u32_e32 v20, vcc, v18, v1, vcc
	v_or_b32_e32 v14, 0x100, v0
	v_pk_mov_b32 v[0:1], s[14:15], s[14:15] op_sel:[0,1]
	v_lshlrev_b32_e32 v12, 5, v4
	v_mul_lo_u32 v4, v7, s18
	v_mul_lo_u32 v5, v6, s19
	v_mad_u64_u32 v[0:1], s[6:7], v6, s18, v[0:1]
	v_add3_u32 v1, v4, v1, v5
	v_mad_u64_u32 v[4:5], s[6:7], v16, s26, 0
	v_mov_b32_e32 v8, v5
	v_mad_u64_u32 v[8:9], s[6:7], v16, s27, v[8:9]
	v_mov_b32_e32 v5, v8
	v_cmp_gt_i32_e64 s[0:1], s22, v6
	v_lshlrev_b64 v[4:5], 2, v[4:5]
	v_mul_lo_u32 v8, v7, s26
	v_mul_lo_u32 v9, v6, s27
	v_mad_u64_u32 v[6:7], s[6:7], v6, s26, 0
	s_cmp_lg_u32 s29, 0
	v_add_co_u32_e32 v4, vcc, v19, v4
	v_add3_u32 v7, v7, v9, v8
	s_cselect_b64 s[2:3], -1, 0
	s_cmp_lg_u32 s16, 1
	v_addc_co_u32_e32 v5, vcc, v20, v5, vcc
	v_lshlrev_b64 v[6:7], 2, v[6:7]
	s_cselect_b64 s[4:5], -1, 0
	s_cmp_eq_u32 s20, 0
	v_add_co_u32_e32 v6, vcc, s24, v6
	v_addc_co_u32_e32 v7, vcc, v18, v7, vcc
	v_lshlrev_b32_e32 v8, 2, v16
	s_cselect_b64 s[6:7], -1, 0
	v_add_co_u32_e32 v6, vcc, v6, v8
	v_cndmask_b32_e64 v8, 0, 1, s[6:7]
	s_and_b64 s[6:7], s[6:7], exec
	v_lshl_or_b32 v13, v10, 2, v12
	v_mad_u32_u24 v15, v10, 3, v14
	v_addc_co_u32_e32 v7, vcc, 0, v7, vcc
	s_cselect_b32 s16, 1, 2
	v_lshlrev_b32_e32 v16, v8, v17
	v_subrev_u32_e32 v17, s17, v10
	s_mov_b64 s[6:7], 0
	v_mov_b32_e32 v18, s9
	s_mov_b32 s9, 0x5040100
	s_mov_b32 s20, 0xc0c0100
	;; [unrolled: 1-line block ×3, first 2 shown]
	s_branch .LBB15_12
.LBB15_11:                              ;   in Loop: Header=BB15_12 Depth=1
	s_or_b64 exec, exec, s[14:15]
	v_add_u32_e32 v2, v2, v11
	v_cmp_le_i32_e32 vcc, s21, v2
	s_or_b64 s[6:7], vcc, s[6:7]
	s_andn2_b64 exec, exec, s[6:7]
	s_cbranch_execz .LBB15_32
.LBB15_12:                              ; =>This Loop Header: Depth=1
                                        ;     Child Loop BB15_15 Depth 2
	v_lshlrev_b64 v[8:9], 2, v[2:3]
	v_add_co_u32_e32 v8, vcc, s8, v8
	v_addc_co_u32_e32 v9, vcc, v18, v9, vcc
	global_load_dwordx2 v[8:9], v[8:9], off
	v_mov_b32_e32 v19, 0
	s_waitcnt vmcnt(0)
	v_cmp_lt_i32_e32 vcc, v8, v9
	s_and_saveexec_b64 s[14:15], vcc
	s_cbranch_execz .LBB15_20
; %bb.13:                               ;   in Loop: Header=BB15_12 Depth=1
	v_subrev_u32_e32 v21, s17, v8
	v_add_u32_e32 v8, v17, v8
	v_subrev_u32_e32 v20, s17, v9
	v_lshl_or_b32 v22, v8, 2, v16
	s_mov_b64 s[18:19], 0
	v_mov_b32_e32 v19, 0
	s_branch .LBB15_15
.LBB15_14:                              ;   in Loop: Header=BB15_15 Depth=2
	s_or_b64 exec, exec, s[22:23]
	v_add_u32_e32 v21, 8, v21
	v_cmp_ge_i32_e32 vcc, v21, v20
	s_or_b64 s[18:19], vcc, s[18:19]
	v_add_u32_e32 v22, 32, v22
	s_andn2_b64 exec, exec, s[18:19]
	s_cbranch_execz .LBB15_19
.LBB15_15:                              ;   Parent Loop BB15_12 Depth=1
                                        ; =>  This Inner Loop Header: Depth=2
	v_add_u32_e32 v8, v10, v21
	v_cmp_lt_i32_e32 vcc, v8, v20
	v_mov_b32_e32 v24, 0
	v_mov_b32_e32 v9, 0
	;; [unrolled: 1-line block ×3, first 2 shown]
	s_and_saveexec_b64 s[22:23], vcc
	s_cbranch_execz .LBB15_17
; %bb.16:                               ;   in Loop: Header=BB15_15 Depth=2
	v_ashrrev_i32_e32 v9, 31, v8
	v_lshlrev_b64 v[8:9], 2, v[8:9]
	v_mov_b32_e32 v23, s11
	v_add_co_u32_e32 v8, vcc, s10, v8
	v_addc_co_u32_e32 v9, vcc, v23, v9, vcc
	global_load_dword v8, v[8:9], off
	v_add_u32_e32 v24, s16, v22
	global_load_ubyte v9, v22, s[12:13]
	global_load_ubyte v23, v24, s[12:13]
	s_waitcnt vmcnt(2)
	v_subrev_u32_e32 v8, s17, v8
	v_lshlrev_b32_e32 v24, 1, v8
.LBB15_17:                              ;   in Loop: Header=BB15_15 Depth=2
	s_or_b64 exec, exec, s[22:23]
	ds_write_b32 v13, v24
	s_waitcnt vmcnt(1)
	ds_write_b8 v15, v9
	s_waitcnt vmcnt(0)
	ds_write_b8 v15, v23 offset:1
	s_waitcnt lgkmcnt(0)
	; wave barrier
	s_waitcnt lgkmcnt(0)
	s_and_saveexec_b64 s[22:23], s[0:1]
	s_cbranch_execz .LBB15_14
; %bb.18:                               ;   in Loop: Header=BB15_15 Depth=2
	ds_read_b128 v[24:27], v12
	ds_read_b128 v[28:31], v12 offset:16
	s_waitcnt lgkmcnt(1)
	v_ashrrev_i32_e32 v9, 31, v24
	v_add_co_u32_e32 v8, vcc, v0, v24
	v_addc_co_u32_e32 v9, vcc, v1, v9, vcc
	v_ashrrev_i32_e32 v23, 31, v25
	v_add_co_u32_e32 v24, vcc, v0, v25
	v_addc_co_u32_e32 v25, vcc, v1, v23, vcc
	v_ashrrev_i32_e32 v23, 31, v26
	v_add_co_u32_e32 v32, vcc, v0, v26
	v_addc_co_u32_e32 v33, vcc, v1, v23, vcc
	v_ashrrev_i32_e32 v23, 31, v27
	v_add_co_u32_e32 v26, vcc, v0, v27
	v_addc_co_u32_e32 v27, vcc, v1, v23, vcc
	s_waitcnt lgkmcnt(0)
	v_ashrrev_i32_e32 v23, 31, v28
	v_add_co_u32_e32 v34, vcc, v0, v28
	v_addc_co_u32_e32 v35, vcc, v1, v23, vcc
	v_ashrrev_i32_e32 v23, 31, v29
	v_add_co_u32_e32 v28, vcc, v0, v29
	v_addc_co_u32_e32 v29, vcc, v1, v23, vcc
	;; [unrolled: 3-line block ×4, first 2 shown]
	global_load_ushort v23, v[8:9], off
	global_load_ushort v38, v[24:25], off
	;; [unrolled: 1-line block ×8, first 2 shown]
	ds_read_u16 v8, v14
	ds_read_i8 v9, v14 offset:3
	ds_read_i8 v24, v14 offset:4
	ds_read_u16 v25, v14 offset:6
	ds_read_i8 v26, v14 offset:9
	ds_read_i8 v27, v14 offset:10
	ds_read_u16 v28, v14 offset:12
	;; [unrolled: 3-line block ×3, first 2 shown]
	ds_read_i8 v32, v14 offset:21
	ds_read_i8 v33, v14 offset:22
	s_waitcnt lgkmcnt(11)
	v_perm_b32 v8, v8, v8, s20
	s_waitcnt lgkmcnt(9)
	v_perm_b32 v9, v24, v9, s24
	;; [unrolled: 2-line block ×4, first 2 shown]
	v_or_b32_e32 v8, v9, v8
	s_waitcnt lgkmcnt(5)
	v_perm_b32 v26, v28, v28, s20
	s_waitcnt lgkmcnt(3)
	v_perm_b32 v27, v30, v29, s24
	v_or_b32_e32 v9, v25, v24
	s_waitcnt lgkmcnt(2)
	v_perm_b32 v28, v31, v31, s20
	s_waitcnt lgkmcnt(0)
	v_perm_b32 v29, v33, v32, s24
	v_or_b32_e32 v24, v27, v26
	s_waitcnt vmcnt(6)
	v_perm_b32 v23, v38, v23, s9
	v_dot4c_i32_i8_e32 v19, v23, v8
	s_waitcnt vmcnt(4)
	v_perm_b32 v25, v40, v39, s9
	v_dot4c_i32_i8_e32 v19, v25, v9
	;; [unrolled: 3-line block ×3, first 2 shown]
	s_waitcnt vmcnt(0)
	v_perm_b32 v27, v44, v43, s9
	v_or_b32_e32 v8, v29, v28
	v_dot4c_i32_i8_e32 v19, v27, v8
	s_branch .LBB15_14
.LBB15_19:                              ;   in Loop: Header=BB15_12 Depth=1
	s_or_b64 exec, exec, s[18:19]
.LBB15_20:                              ;   in Loop: Header=BB15_12 Depth=1
	s_or_b64 exec, exec, s[14:15]
	s_and_saveexec_b64 s[14:15], s[0:1]
	s_cbranch_execz .LBB15_11
; %bb.21:                               ;   in Loop: Header=BB15_12 Depth=1
	v_mul_lo_u32 v8, v19, s28
	s_mov_b64 s[18:19], -1
	s_and_b64 vcc, exec, s[2:3]
	s_cbranch_vccz .LBB15_27
; %bb.22:                               ;   in Loop: Header=BB15_12 Depth=1
	s_and_b64 vcc, exec, s[4:5]
	s_cbranch_vccz .LBB15_24
; %bb.23:                               ;   in Loop: Header=BB15_12 Depth=1
	global_load_dword v9, v[4:5], off
	s_waitcnt vmcnt(0)
	v_mad_u64_u32 v[20:21], s[18:19], v9, s29, v[8:9]
	global_store_dword v[4:5], v20, off
	s_mov_b64 s[18:19], 0
.LBB15_24:                              ;   in Loop: Header=BB15_12 Depth=1
	s_andn2_b64 vcc, exec, s[18:19]
	s_cbranch_vccnz .LBB15_26
; %bb.25:                               ;   in Loop: Header=BB15_12 Depth=1
	global_load_dword v9, v[6:7], off
	s_waitcnt vmcnt(0)
	v_mad_u64_u32 v[20:21], s[18:19], v9, s29, v[8:9]
	global_store_dword v[6:7], v20, off
.LBB15_26:                              ;   in Loop: Header=BB15_12 Depth=1
	s_mov_b64 s[18:19], 0
.LBB15_27:                              ;   in Loop: Header=BB15_12 Depth=1
	s_andn2_b64 vcc, exec, s[18:19]
	s_cbranch_vccnz .LBB15_11
; %bb.28:                               ;   in Loop: Header=BB15_12 Depth=1
	s_mov_b64 s[18:19], -1
	s_and_b64 vcc, exec, s[4:5]
	s_cbranch_vccz .LBB15_30
; %bb.29:                               ;   in Loop: Header=BB15_12 Depth=1
	global_store_dword v[4:5], v8, off
	s_mov_b64 s[18:19], 0
.LBB15_30:                              ;   in Loop: Header=BB15_12 Depth=1
	s_andn2_b64 vcc, exec, s[18:19]
	s_cbranch_vccnz .LBB15_11
; %bb.31:                               ;   in Loop: Header=BB15_12 Depth=1
	global_store_dword v[6:7], v8, off
	s_branch .LBB15_11
.LBB15_32:
	s_endpgm
	.section	.rodata,"a",@progbits
	.p2align	6, 0x0
	.amdhsa_kernel _ZN9rocsparseL29bsrmmnn_small_blockdim_kernelILj64ELj8ELj2EiiaaiiEEv20rocsparse_direction_T3_S2_llNS_24const_host_device_scalarIT7_EEPKT2_PKS2_PKT4_PKT5_llS5_PT6_ll16rocsparse_order_21rocsparse_index_base_b
		.amdhsa_group_segment_fixed_size 448
		.amdhsa_private_segment_fixed_size 0
		.amdhsa_kernarg_size 392
		.amdhsa_user_sgpr_count 6
		.amdhsa_user_sgpr_private_segment_buffer 1
		.amdhsa_user_sgpr_dispatch_ptr 0
		.amdhsa_user_sgpr_queue_ptr 0
		.amdhsa_user_sgpr_kernarg_segment_ptr 1
		.amdhsa_user_sgpr_dispatch_id 0
		.amdhsa_user_sgpr_flat_scratch_init 0
		.amdhsa_user_sgpr_kernarg_preload_length 0
		.amdhsa_user_sgpr_kernarg_preload_offset 0
		.amdhsa_user_sgpr_private_segment_size 0
		.amdhsa_uses_dynamic_stack 0
		.amdhsa_system_sgpr_private_segment_wavefront_offset 0
		.amdhsa_system_sgpr_workgroup_id_x 1
		.amdhsa_system_sgpr_workgroup_id_y 1
		.amdhsa_system_sgpr_workgroup_id_z 0
		.amdhsa_system_sgpr_workgroup_info 0
		.amdhsa_system_vgpr_workitem_id 0
		.amdhsa_next_free_vgpr 45
		.amdhsa_next_free_sgpr 30
		.amdhsa_accum_offset 48
		.amdhsa_reserve_vcc 1
		.amdhsa_reserve_flat_scratch 0
		.amdhsa_float_round_mode_32 0
		.amdhsa_float_round_mode_16_64 0
		.amdhsa_float_denorm_mode_32 3
		.amdhsa_float_denorm_mode_16_64 3
		.amdhsa_dx10_clamp 1
		.amdhsa_ieee_mode 1
		.amdhsa_fp16_overflow 0
		.amdhsa_tg_split 0
		.amdhsa_exception_fp_ieee_invalid_op 0
		.amdhsa_exception_fp_denorm_src 0
		.amdhsa_exception_fp_ieee_div_zero 0
		.amdhsa_exception_fp_ieee_overflow 0
		.amdhsa_exception_fp_ieee_underflow 0
		.amdhsa_exception_fp_ieee_inexact 0
		.amdhsa_exception_int_div_zero 0
	.end_amdhsa_kernel
	.section	.text._ZN9rocsparseL29bsrmmnn_small_blockdim_kernelILj64ELj8ELj2EiiaaiiEEv20rocsparse_direction_T3_S2_llNS_24const_host_device_scalarIT7_EEPKT2_PKS2_PKT4_PKT5_llS5_PT6_ll16rocsparse_order_21rocsparse_index_base_b,"axG",@progbits,_ZN9rocsparseL29bsrmmnn_small_blockdim_kernelILj64ELj8ELj2EiiaaiiEEv20rocsparse_direction_T3_S2_llNS_24const_host_device_scalarIT7_EEPKT2_PKS2_PKT4_PKT5_llS5_PT6_ll16rocsparse_order_21rocsparse_index_base_b,comdat
.Lfunc_end15:
	.size	_ZN9rocsparseL29bsrmmnn_small_blockdim_kernelILj64ELj8ELj2EiiaaiiEEv20rocsparse_direction_T3_S2_llNS_24const_host_device_scalarIT7_EEPKT2_PKS2_PKT4_PKT5_llS5_PT6_ll16rocsparse_order_21rocsparse_index_base_b, .Lfunc_end15-_ZN9rocsparseL29bsrmmnn_small_blockdim_kernelILj64ELj8ELj2EiiaaiiEEv20rocsparse_direction_T3_S2_llNS_24const_host_device_scalarIT7_EEPKT2_PKS2_PKT4_PKT5_llS5_PT6_ll16rocsparse_order_21rocsparse_index_base_b
                                        ; -- End function
	.section	.AMDGPU.csdata,"",@progbits
; Kernel info:
; codeLenInByte = 1516
; NumSgprs: 34
; NumVgprs: 45
; NumAgprs: 0
; TotalNumVgprs: 45
; ScratchSize: 0
; MemoryBound: 0
; FloatMode: 240
; IeeeMode: 1
; LDSByteSize: 448 bytes/workgroup (compile time only)
; SGPRBlocks: 4
; VGPRBlocks: 5
; NumSGPRsForWavesPerEU: 34
; NumVGPRsForWavesPerEU: 45
; AccumOffset: 48
; Occupancy: 8
; WaveLimiterHint : 0
; COMPUTE_PGM_RSRC2:SCRATCH_EN: 0
; COMPUTE_PGM_RSRC2:USER_SGPR: 6
; COMPUTE_PGM_RSRC2:TRAP_HANDLER: 0
; COMPUTE_PGM_RSRC2:TGID_X_EN: 1
; COMPUTE_PGM_RSRC2:TGID_Y_EN: 1
; COMPUTE_PGM_RSRC2:TGID_Z_EN: 0
; COMPUTE_PGM_RSRC2:TIDIG_COMP_CNT: 0
; COMPUTE_PGM_RSRC3_GFX90A:ACCUM_OFFSET: 11
; COMPUTE_PGM_RSRC3_GFX90A:TG_SPLIT: 0
	.section	.text._ZN9rocsparseL29bsrmmnn_small_blockdim_kernelILj64ELj8ELj2EliaaiiEEv20rocsparse_direction_T3_S2_llNS_24const_host_device_scalarIT7_EEPKT2_PKS2_PKT4_PKT5_llS5_PT6_ll16rocsparse_order_21rocsparse_index_base_b,"axG",@progbits,_ZN9rocsparseL29bsrmmnn_small_blockdim_kernelILj64ELj8ELj2EliaaiiEEv20rocsparse_direction_T3_S2_llNS_24const_host_device_scalarIT7_EEPKT2_PKS2_PKT4_PKT5_llS5_PT6_ll16rocsparse_order_21rocsparse_index_base_b,comdat
	.globl	_ZN9rocsparseL29bsrmmnn_small_blockdim_kernelILj64ELj8ELj2EliaaiiEEv20rocsparse_direction_T3_S2_llNS_24const_host_device_scalarIT7_EEPKT2_PKS2_PKT4_PKT5_llS5_PT6_ll16rocsparse_order_21rocsparse_index_base_b ; -- Begin function _ZN9rocsparseL29bsrmmnn_small_blockdim_kernelILj64ELj8ELj2EliaaiiEEv20rocsparse_direction_T3_S2_llNS_24const_host_device_scalarIT7_EEPKT2_PKS2_PKT4_PKT5_llS5_PT6_ll16rocsparse_order_21rocsparse_index_base_b
	.p2align	8
	.type	_ZN9rocsparseL29bsrmmnn_small_blockdim_kernelILj64ELj8ELj2EliaaiiEEv20rocsparse_direction_T3_S2_llNS_24const_host_device_scalarIT7_EEPKT2_PKS2_PKT4_PKT5_llS5_PT6_ll16rocsparse_order_21rocsparse_index_base_b,@function
_ZN9rocsparseL29bsrmmnn_small_blockdim_kernelILj64ELj8ELj2EliaaiiEEv20rocsparse_direction_T3_S2_llNS_24const_host_device_scalarIT7_EEPKT2_PKS2_PKT4_PKT5_llS5_PT6_ll16rocsparse_order_21rocsparse_index_base_b: ; @_ZN9rocsparseL29bsrmmnn_small_blockdim_kernelILj64ELj8ELj2EliaaiiEEv20rocsparse_direction_T3_S2_llNS_24const_host_device_scalarIT7_EEPKT2_PKS2_PKT4_PKT5_llS5_PT6_ll16rocsparse_order_21rocsparse_index_base_b
; %bb.0:
	s_load_dwordx4 s[16:19], s[4:5], 0x78
	s_load_dwordx2 s[8:9], s[4:5], 0x20
	s_mov_b64 s[10:11], -1
                                        ; implicit-def: $sgpr28
	s_waitcnt lgkmcnt(0)
	s_bitcmp1_b32 s18, 0
	s_cselect_b64 s[0:1], -1, 0
	s_xor_b64 s[2:3], s[0:1], -1
	s_and_b64 vcc, exec, s[2:3]
	s_cbranch_vccnz .LBB16_4
; %bb.1:
	s_load_dwordx2 s[0:1], s[4:5], 0x58
	s_andn2_b64 vcc, exec, s[10:11]
	s_cbranch_vccz .LBB16_5
.LBB16_2:
	s_and_b64 vcc, exec, s[2:3]
	s_cbranch_vccz .LBB16_6
.LBB16_3:
	s_waitcnt lgkmcnt(0)
	s_load_dword s29, s[0:1], 0x0
	s_cbranch_execz .LBB16_7
	s_branch .LBB16_8
.LBB16_4:
	s_load_dword s28, s[8:9], 0x0
	s_load_dwordx2 s[0:1], s[4:5], 0x58
	s_cbranch_execnz .LBB16_2
.LBB16_5:
	s_waitcnt lgkmcnt(0)
	s_mov_b32 s28, s8
	s_and_b64 vcc, exec, s[2:3]
	s_cbranch_vccnz .LBB16_3
.LBB16_6:
                                        ; implicit-def: $sgpr29
.LBB16_7:
	s_waitcnt lgkmcnt(0)
	s_mov_b32 s29, s0
.LBB16_8:
	s_waitcnt lgkmcnt(0)
	s_cmp_eq_u32 s28, 0
	s_cselect_b64 s[0:1], -1, 0
	s_cmp_eq_u32 s29, 1
	s_cselect_b64 s[2:3], -1, 0
	s_and_b64 s[0:1], s[0:1], s[2:3]
	s_and_b64 vcc, exec, s[0:1]
	s_cbranch_vccnz .LBB16_32
; %bb.9:
	s_load_dword s0, s[4:5], 0x88
	s_load_dwordx4 s[20:23], s[4:5], 0x0
	s_add_u32 s1, s4, 0x88
	s_addc_u32 s3, s5, 0
	v_mov_b32_e32 v5, 0
	s_waitcnt lgkmcnt(0)
	s_cmp_lt_u32 s6, s0
	s_cselect_b32 s2, 12, 18
	s_add_u32 s2, s1, s2
	s_addc_u32 s3, s3, 0
	global_load_ushort v2, v5, s[2:3]
	s_waitcnt vmcnt(0)
	v_mul_lo_u32 v1, s6, v2
	v_add_u32_e32 v1, v1, v0
	v_lshrrev_b32_e32 v4, 4, v1
	v_cmp_gt_i32_e32 vcc, s21, v4
	s_and_saveexec_b64 s[2:3], vcc
	s_cbranch_execz .LBB16_32
; %bb.10:
	s_load_dwordx8 s[8:15], s[4:5], 0x28
	v_mul_lo_u32 v2, s0, v2
	s_load_dwordx4 s[24:27], s[4:5], 0x60
	s_load_dwordx2 s[18:19], s[4:5], 0x48
	v_and_b32_e32 v6, 7, v1
	v_lshrrev_b32_e32 v7, 4, v2
	v_lshl_or_b32 v2, s7, 3, v6
	v_lshrrev_b32_e32 v0, 3, v0
	v_ashrrev_i32_e32 v3, 31, v2
	v_lshlrev_b64 v[8:9], 2, v[2:3]
	v_lshlrev_b32_e32 v18, 5, v0
	v_mul_u32_u24_e32 v0, 24, v0
	s_waitcnt lgkmcnt(0)
	v_mov_b32_e32 v12, s25
	v_add_co_u32_e32 v13, vcc, s24, v8
	v_lshrrev_b32_e32 v15, 3, v1
	v_bfe_u32 v16, v1, 3, 1
	v_or_b32_e32 v20, 0x100, v0
	v_pk_mov_b32 v[0:1], s[14:15], s[14:15] op_sel:[0,1]
	v_addc_co_u32_e32 v14, vcc, v12, v9, vcc
	v_mul_lo_u32 v10, v3, s18
	v_mul_lo_u32 v11, v2, s19
	v_mad_u64_u32 v[8:9], s[6:7], v2, s18, v[0:1]
	v_mad_u64_u32 v[0:1], s[6:7], v15, s26, 0
	v_add3_u32 v9, v10, v9, v11
	v_mov_b32_e32 v10, v1
	v_mad_u64_u32 v[10:11], s[6:7], v15, s27, v[10:11]
	v_mov_b32_e32 v1, v10
	v_lshlrev_b64 v[0:1], 2, v[0:1]
	v_add_co_u32_e32 v10, vcc, v13, v0
	v_addc_co_u32_e32 v11, vcc, v14, v1, vcc
	v_mul_lo_u32 v3, v3, s26
	v_mul_lo_u32 v13, v2, s27
	v_mad_u64_u32 v[0:1], s[6:7], v2, s26, 0
	v_add3_u32 v1, v1, v13, v3
	s_cmp_lg_u32 s29, 0
	v_lshlrev_b64 v[0:1], 2, v[0:1]
	s_cselect_b64 s[2:3], -1, 0
	s_cmp_lg_u32 s16, 1
	v_add_co_u32_e32 v0, vcc, s24, v0
	s_cselect_b64 s[4:5], -1, 0
	s_cmp_eq_u32 s20, 0
	v_cmp_gt_i32_e64 s[0:1], s22, v2
	v_addc_co_u32_e32 v1, vcc, v12, v1, vcc
	v_lshlrev_b32_e32 v2, 2, v15
	v_add_co_u32_e32 v12, vcc, v0, v2
	s_cselect_b64 s[6:7], -1, 0
	v_addc_co_u32_e32 v13, vcc, 0, v1, vcc
	v_cndmask_b32_e64 v0, 0, 1, s[6:7]
	v_lshlrev_b32_e32 v0, v0, v16
	v_subrev_co_u32_e32 v22, vcc, s17, v6
	s_mov_b32 s23, 0
	s_and_b64 s[6:7], s[6:7], exec
	v_subb_co_u32_e64 v23, s[6:7], 0, 0, vcc
	v_mov_b32_e32 v1, s13
	v_add_co_u32_e32 v24, vcc, s12, v0
	s_mov_b32 s25, s17
	v_lshl_or_b32 v19, v6, 2, v18
	v_mad_u32_u24 v21, v6, 3, v20
	s_cselect_b32 s16, 1, 2
	s_mov_b32 s20, s23
	v_addc_co_u32_e32 v25, vcc, 0, v1, vcc
	s_mov_b64 s[6:7], 0
	s_mov_b32 s22, 0x5040100
	s_mov_b32 s24, 0xc0c0100
	;; [unrolled: 1-line block ×3, first 2 shown]
	v_mov_b32_e32 v26, s9
	s_branch .LBB16_12
.LBB16_11:                              ;   in Loop: Header=BB16_12 Depth=1
	s_or_b64 exec, exec, s[12:13]
	v_add_u32_e32 v4, v4, v7
	v_cmp_le_i32_e32 vcc, s21, v4
	s_or_b64 s[6:7], vcc, s[6:7]
	s_andn2_b64 exec, exec, s[6:7]
	s_cbranch_execz .LBB16_32
.LBB16_12:                              ; =>This Loop Header: Depth=1
                                        ;     Child Loop BB16_15 Depth 2
	v_lshlrev_b64 v[0:1], 3, v[4:5]
	v_add_co_u32_e32 v0, vcc, s8, v0
	v_addc_co_u32_e32 v1, vcc, v26, v1, vcc
	global_load_dwordx4 v[0:3], v[0:1], off
	v_mov_b32_e32 v27, 0
	s_waitcnt vmcnt(0)
	v_cmp_lt_i64_e32 vcc, v[0:1], v[2:3]
	s_and_saveexec_b64 s[12:13], vcc
	s_cbranch_execz .LBB16_20
; %bb.13:                               ;   in Loop: Header=BB16_12 Depth=1
	v_mov_b32_e32 v15, s23
	v_subrev_co_u32_e32 v2, vcc, s25, v2
	v_subb_co_u32_e32 v3, vcc, v3, v15, vcc
	v_subrev_co_u32_e32 v14, vcc, s25, v0
	v_subb_co_u32_e32 v15, vcc, v1, v15, vcc
	v_add_co_u32_e32 v0, vcc, v22, v0
	v_addc_co_u32_e32 v1, vcc, v23, v1, vcc
	v_lshlrev_b64 v[16:17], 2, v[0:1]
	v_mov_b32_e32 v1, s11
	v_add_co_u32_e32 v0, vcc, s10, v16
	v_addc_co_u32_e32 v1, vcc, v1, v17, vcc
	v_add_co_u32_e32 v16, vcc, v24, v16
	v_addc_co_u32_e32 v17, vcc, v25, v17, vcc
	s_mov_b64 s[14:15], 0
	v_mov_b32_e32 v27, 0
	s_branch .LBB16_15
.LBB16_14:                              ;   in Loop: Header=BB16_15 Depth=2
	s_or_b64 exec, exec, s[18:19]
	v_add_co_u32_e32 v14, vcc, 8, v14
	v_addc_co_u32_e32 v15, vcc, 0, v15, vcc
	v_add_co_u32_e32 v0, vcc, 32, v0
	v_addc_co_u32_e32 v1, vcc, 0, v1, vcc
	v_cmp_ge_i64_e32 vcc, v[14:15], v[2:3]
	s_or_b64 s[14:15], vcc, s[14:15]
	v_add_co_u32_e32 v16, vcc, 32, v16
	v_addc_co_u32_e32 v17, vcc, 0, v17, vcc
	s_andn2_b64 exec, exec, s[14:15]
	s_cbranch_execz .LBB16_19
.LBB16_15:                              ;   Parent Loop BB16_12 Depth=1
                                        ; =>  This Inner Loop Header: Depth=2
	v_add_co_u32_e32 v28, vcc, v6, v14
	v_addc_co_u32_e32 v29, vcc, 0, v15, vcc
	v_cmp_lt_i64_e32 vcc, v[28:29], v[2:3]
	v_mov_b32_e32 v30, 0
	v_mov_b32_e32 v28, 0
	;; [unrolled: 1-line block ×3, first 2 shown]
	s_and_saveexec_b64 s[18:19], vcc
	s_cbranch_execz .LBB16_17
; %bb.16:                               ;   in Loop: Header=BB16_15 Depth=2
	global_load_dword v32, v[0:1], off
	v_mov_b32_e32 v28, s20
	v_add_co_u32_e32 v30, vcc, s16, v16
	v_addc_co_u32_e32 v31, vcc, v17, v28, vcc
	global_load_ubyte v28, v[16:17], off
	global_load_ubyte v29, v[30:31], off
	s_waitcnt vmcnt(2)
	v_subrev_u32_e32 v30, s17, v32
	v_lshlrev_b32_e32 v30, 1, v30
.LBB16_17:                              ;   in Loop: Header=BB16_15 Depth=2
	s_or_b64 exec, exec, s[18:19]
	ds_write_b32 v19, v30
	s_waitcnt vmcnt(1)
	ds_write_b8 v21, v28
	s_waitcnt vmcnt(0)
	ds_write_b8 v21, v29 offset:1
	s_waitcnt lgkmcnt(0)
	; wave barrier
	s_waitcnt lgkmcnt(0)
	s_and_saveexec_b64 s[18:19], s[0:1]
	s_cbranch_execz .LBB16_14
; %bb.18:                               ;   in Loop: Header=BB16_15 Depth=2
	ds_read_b128 v[28:31], v18
	ds_read_b128 v[32:35], v18 offset:16
	s_waitcnt lgkmcnt(1)
	v_ashrrev_i32_e32 v37, 31, v28
	v_add_co_u32_e32 v36, vcc, v8, v28
	v_addc_co_u32_e32 v37, vcc, v9, v37, vcc
	v_ashrrev_i32_e32 v38, 31, v29
	v_add_co_u32_e32 v28, vcc, v8, v29
	v_addc_co_u32_e32 v29, vcc, v9, v38, vcc
	;; [unrolled: 3-line block ×4, first 2 shown]
	s_waitcnt lgkmcnt(0)
	v_ashrrev_i32_e32 v41, 31, v32
	v_add_co_u32_e32 v40, vcc, v8, v32
	v_addc_co_u32_e32 v41, vcc, v9, v41, vcc
	v_ashrrev_i32_e32 v42, 31, v33
	v_add_co_u32_e32 v32, vcc, v8, v33
	v_addc_co_u32_e32 v33, vcc, v9, v42, vcc
	v_ashrrev_i32_e32 v43, 31, v34
	v_add_co_u32_e32 v42, vcc, v8, v34
	v_addc_co_u32_e32 v43, vcc, v9, v43, vcc
	v_ashrrev_i32_e32 v44, 31, v35
	v_add_co_u32_e32 v34, vcc, v8, v35
	v_addc_co_u32_e32 v35, vcc, v9, v44, vcc
	global_load_ushort v44, v[36:37], off
	global_load_ushort v45, v[28:29], off
	;; [unrolled: 1-line block ×8, first 2 shown]
	ds_read_u16 v28, v20
	ds_read_i8 v29, v20 offset:3
	ds_read_i8 v30, v20 offset:4
	ds_read_u16 v31, v20 offset:6
	ds_read_i8 v32, v20 offset:9
	ds_read_i8 v33, v20 offset:10
	ds_read_u16 v34, v20 offset:12
	;; [unrolled: 3-line block ×3, first 2 shown]
	ds_read_i8 v38, v20 offset:21
	ds_read_i8 v39, v20 offset:22
	s_waitcnt lgkmcnt(11)
	v_perm_b32 v28, v28, v28, s24
	s_waitcnt lgkmcnt(9)
	v_perm_b32 v29, v30, v29, s26
	;; [unrolled: 2-line block ×6, first 2 shown]
	v_or_b32_e32 v28, v29, v28
	v_or_b32_e32 v29, v31, v30
	;; [unrolled: 1-line block ×3, first 2 shown]
	s_waitcnt lgkmcnt(2)
	v_perm_b32 v34, v37, v37, s24
	s_waitcnt lgkmcnt(0)
	v_perm_b32 v35, v39, v38, s26
	s_waitcnt vmcnt(6)
	v_perm_b32 v31, v45, v44, s22
	v_dot4c_i32_i8_e32 v27, v31, v28
	s_waitcnt vmcnt(4)
	v_perm_b32 v32, v47, v46, s22
	v_dot4c_i32_i8_e32 v27, v32, v29
	;; [unrolled: 3-line block ×3, first 2 shown]
	s_waitcnt vmcnt(0)
	v_perm_b32 v36, v51, v50, s22
	v_or_b32_e32 v28, v35, v34
	v_dot4c_i32_i8_e32 v27, v36, v28
	s_branch .LBB16_14
.LBB16_19:                              ;   in Loop: Header=BB16_12 Depth=1
	s_or_b64 exec, exec, s[14:15]
.LBB16_20:                              ;   in Loop: Header=BB16_12 Depth=1
	s_or_b64 exec, exec, s[12:13]
	s_and_saveexec_b64 s[12:13], s[0:1]
	s_cbranch_execz .LBB16_11
; %bb.21:                               ;   in Loop: Header=BB16_12 Depth=1
	v_mul_lo_u32 v0, v27, s28
	s_mov_b64 s[14:15], -1
	s_and_b64 vcc, exec, s[2:3]
	s_cbranch_vccz .LBB16_27
; %bb.22:                               ;   in Loop: Header=BB16_12 Depth=1
	s_and_b64 vcc, exec, s[4:5]
	s_cbranch_vccz .LBB16_24
; %bb.23:                               ;   in Loop: Header=BB16_12 Depth=1
	global_load_dword v1, v[10:11], off
	s_waitcnt vmcnt(0)
	v_mad_u64_u32 v[2:3], s[14:15], v1, s29, v[0:1]
	global_store_dword v[10:11], v2, off
	s_mov_b64 s[14:15], 0
.LBB16_24:                              ;   in Loop: Header=BB16_12 Depth=1
	s_andn2_b64 vcc, exec, s[14:15]
	s_cbranch_vccnz .LBB16_26
; %bb.25:                               ;   in Loop: Header=BB16_12 Depth=1
	global_load_dword v1, v[12:13], off
	s_waitcnt vmcnt(0)
	v_mad_u64_u32 v[2:3], s[14:15], v1, s29, v[0:1]
	global_store_dword v[12:13], v2, off
.LBB16_26:                              ;   in Loop: Header=BB16_12 Depth=1
	s_mov_b64 s[14:15], 0
.LBB16_27:                              ;   in Loop: Header=BB16_12 Depth=1
	s_andn2_b64 vcc, exec, s[14:15]
	s_cbranch_vccnz .LBB16_11
; %bb.28:                               ;   in Loop: Header=BB16_12 Depth=1
	s_mov_b64 s[14:15], -1
	s_and_b64 vcc, exec, s[4:5]
	s_cbranch_vccz .LBB16_30
; %bb.29:                               ;   in Loop: Header=BB16_12 Depth=1
	global_store_dword v[10:11], v0, off
	s_mov_b64 s[14:15], 0
.LBB16_30:                              ;   in Loop: Header=BB16_12 Depth=1
	s_andn2_b64 vcc, exec, s[14:15]
	s_cbranch_vccnz .LBB16_11
; %bb.31:                               ;   in Loop: Header=BB16_12 Depth=1
	global_store_dword v[12:13], v0, off
	s_branch .LBB16_11
.LBB16_32:
	s_endpgm
	.section	.rodata,"a",@progbits
	.p2align	6, 0x0
	.amdhsa_kernel _ZN9rocsparseL29bsrmmnn_small_blockdim_kernelILj64ELj8ELj2EliaaiiEEv20rocsparse_direction_T3_S2_llNS_24const_host_device_scalarIT7_EEPKT2_PKS2_PKT4_PKT5_llS5_PT6_ll16rocsparse_order_21rocsparse_index_base_b
		.amdhsa_group_segment_fixed_size 448
		.amdhsa_private_segment_fixed_size 0
		.amdhsa_kernarg_size 392
		.amdhsa_user_sgpr_count 6
		.amdhsa_user_sgpr_private_segment_buffer 1
		.amdhsa_user_sgpr_dispatch_ptr 0
		.amdhsa_user_sgpr_queue_ptr 0
		.amdhsa_user_sgpr_kernarg_segment_ptr 1
		.amdhsa_user_sgpr_dispatch_id 0
		.amdhsa_user_sgpr_flat_scratch_init 0
		.amdhsa_user_sgpr_kernarg_preload_length 0
		.amdhsa_user_sgpr_kernarg_preload_offset 0
		.amdhsa_user_sgpr_private_segment_size 0
		.amdhsa_uses_dynamic_stack 0
		.amdhsa_system_sgpr_private_segment_wavefront_offset 0
		.amdhsa_system_sgpr_workgroup_id_x 1
		.amdhsa_system_sgpr_workgroup_id_y 1
		.amdhsa_system_sgpr_workgroup_id_z 0
		.amdhsa_system_sgpr_workgroup_info 0
		.amdhsa_system_vgpr_workitem_id 0
		.amdhsa_next_free_vgpr 52
		.amdhsa_next_free_sgpr 30
		.amdhsa_accum_offset 52
		.amdhsa_reserve_vcc 1
		.amdhsa_reserve_flat_scratch 0
		.amdhsa_float_round_mode_32 0
		.amdhsa_float_round_mode_16_64 0
		.amdhsa_float_denorm_mode_32 3
		.amdhsa_float_denorm_mode_16_64 3
		.amdhsa_dx10_clamp 1
		.amdhsa_ieee_mode 1
		.amdhsa_fp16_overflow 0
		.amdhsa_tg_split 0
		.amdhsa_exception_fp_ieee_invalid_op 0
		.amdhsa_exception_fp_denorm_src 0
		.amdhsa_exception_fp_ieee_div_zero 0
		.amdhsa_exception_fp_ieee_overflow 0
		.amdhsa_exception_fp_ieee_underflow 0
		.amdhsa_exception_fp_ieee_inexact 0
		.amdhsa_exception_int_div_zero 0
	.end_amdhsa_kernel
	.section	.text._ZN9rocsparseL29bsrmmnn_small_blockdim_kernelILj64ELj8ELj2EliaaiiEEv20rocsparse_direction_T3_S2_llNS_24const_host_device_scalarIT7_EEPKT2_PKS2_PKT4_PKT5_llS5_PT6_ll16rocsparse_order_21rocsparse_index_base_b,"axG",@progbits,_ZN9rocsparseL29bsrmmnn_small_blockdim_kernelILj64ELj8ELj2EliaaiiEEv20rocsparse_direction_T3_S2_llNS_24const_host_device_scalarIT7_EEPKT2_PKS2_PKT4_PKT5_llS5_PT6_ll16rocsparse_order_21rocsparse_index_base_b,comdat
.Lfunc_end16:
	.size	_ZN9rocsparseL29bsrmmnn_small_blockdim_kernelILj64ELj8ELj2EliaaiiEEv20rocsparse_direction_T3_S2_llNS_24const_host_device_scalarIT7_EEPKT2_PKS2_PKT4_PKT5_llS5_PT6_ll16rocsparse_order_21rocsparse_index_base_b, .Lfunc_end16-_ZN9rocsparseL29bsrmmnn_small_blockdim_kernelILj64ELj8ELj2EliaaiiEEv20rocsparse_direction_T3_S2_llNS_24const_host_device_scalarIT7_EEPKT2_PKS2_PKT4_PKT5_llS5_PT6_ll16rocsparse_order_21rocsparse_index_base_b
                                        ; -- End function
	.section	.AMDGPU.csdata,"",@progbits
; Kernel info:
; codeLenInByte = 1588
; NumSgprs: 34
; NumVgprs: 52
; NumAgprs: 0
; TotalNumVgprs: 52
; ScratchSize: 0
; MemoryBound: 0
; FloatMode: 240
; IeeeMode: 1
; LDSByteSize: 448 bytes/workgroup (compile time only)
; SGPRBlocks: 4
; VGPRBlocks: 6
; NumSGPRsForWavesPerEU: 34
; NumVGPRsForWavesPerEU: 52
; AccumOffset: 52
; Occupancy: 8
; WaveLimiterHint : 0
; COMPUTE_PGM_RSRC2:SCRATCH_EN: 0
; COMPUTE_PGM_RSRC2:USER_SGPR: 6
; COMPUTE_PGM_RSRC2:TRAP_HANDLER: 0
; COMPUTE_PGM_RSRC2:TGID_X_EN: 1
; COMPUTE_PGM_RSRC2:TGID_Y_EN: 1
; COMPUTE_PGM_RSRC2:TGID_Z_EN: 0
; COMPUTE_PGM_RSRC2:TIDIG_COMP_CNT: 0
; COMPUTE_PGM_RSRC3_GFX90A:ACCUM_OFFSET: 12
; COMPUTE_PGM_RSRC3_GFX90A:TG_SPLIT: 0
	.section	.text._ZN9rocsparseL29bsrmmnn_small_blockdim_kernelILj64ELj8ELj2EllaaiiEEv20rocsparse_direction_T3_S2_llNS_24const_host_device_scalarIT7_EEPKT2_PKS2_PKT4_PKT5_llS5_PT6_ll16rocsparse_order_21rocsparse_index_base_b,"axG",@progbits,_ZN9rocsparseL29bsrmmnn_small_blockdim_kernelILj64ELj8ELj2EllaaiiEEv20rocsparse_direction_T3_S2_llNS_24const_host_device_scalarIT7_EEPKT2_PKS2_PKT4_PKT5_llS5_PT6_ll16rocsparse_order_21rocsparse_index_base_b,comdat
	.globl	_ZN9rocsparseL29bsrmmnn_small_blockdim_kernelILj64ELj8ELj2EllaaiiEEv20rocsparse_direction_T3_S2_llNS_24const_host_device_scalarIT7_EEPKT2_PKS2_PKT4_PKT5_llS5_PT6_ll16rocsparse_order_21rocsparse_index_base_b ; -- Begin function _ZN9rocsparseL29bsrmmnn_small_blockdim_kernelILj64ELj8ELj2EllaaiiEEv20rocsparse_direction_T3_S2_llNS_24const_host_device_scalarIT7_EEPKT2_PKS2_PKT4_PKT5_llS5_PT6_ll16rocsparse_order_21rocsparse_index_base_b
	.p2align	8
	.type	_ZN9rocsparseL29bsrmmnn_small_blockdim_kernelILj64ELj8ELj2EllaaiiEEv20rocsparse_direction_T3_S2_llNS_24const_host_device_scalarIT7_EEPKT2_PKS2_PKT4_PKT5_llS5_PT6_ll16rocsparse_order_21rocsparse_index_base_b,@function
_ZN9rocsparseL29bsrmmnn_small_blockdim_kernelILj64ELj8ELj2EllaaiiEEv20rocsparse_direction_T3_S2_llNS_24const_host_device_scalarIT7_EEPKT2_PKS2_PKT4_PKT5_llS5_PT6_ll16rocsparse_order_21rocsparse_index_base_b: ; @_ZN9rocsparseL29bsrmmnn_small_blockdim_kernelILj64ELj8ELj2EllaaiiEEv20rocsparse_direction_T3_S2_llNS_24const_host_device_scalarIT7_EEPKT2_PKS2_PKT4_PKT5_llS5_PT6_ll16rocsparse_order_21rocsparse_index_base_b
; %bb.0:
	s_load_dwordx4 s[20:23], s[4:5], 0x80
	s_load_dwordx2 s[8:9], s[4:5], 0x28
	s_mov_b64 s[10:11], -1
	s_waitcnt lgkmcnt(0)
	s_bitcmp1_b32 s22, 0
	s_cselect_b64 s[0:1], -1, 0
	s_xor_b64 s[2:3], s[0:1], -1
	s_and_b64 vcc, exec, s[2:3]
                                        ; implicit-def: $sgpr22
	s_cbranch_vccnz .LBB17_4
; %bb.1:
	s_load_dwordx2 s[0:1], s[4:5], 0x60
	s_andn2_b64 vcc, exec, s[10:11]
	s_cbranch_vccz .LBB17_5
.LBB17_2:
	s_and_b64 vcc, exec, s[2:3]
	s_cbranch_vccz .LBB17_6
.LBB17_3:
	s_waitcnt lgkmcnt(0)
	s_load_dword s23, s[0:1], 0x0
	s_cbranch_execz .LBB17_7
	s_branch .LBB17_8
.LBB17_4:
	s_load_dword s22, s[8:9], 0x0
	s_load_dwordx2 s[0:1], s[4:5], 0x60
	s_cbranch_execnz .LBB17_2
.LBB17_5:
	s_waitcnt lgkmcnt(0)
	s_mov_b32 s22, s8
	s_and_b64 vcc, exec, s[2:3]
	s_cbranch_vccnz .LBB17_3
.LBB17_6:
                                        ; implicit-def: $sgpr23
.LBB17_7:
	s_waitcnt lgkmcnt(0)
	s_mov_b32 s23, s0
.LBB17_8:
	s_waitcnt lgkmcnt(0)
	s_cmp_eq_u32 s22, 0
	s_cselect_b64 s[0:1], -1, 0
	s_cmp_eq_u32 s23, 1
	s_cselect_b64 s[2:3], -1, 0
	s_and_b64 s[0:1], s[0:1], s[2:3]
	s_and_b64 vcc, exec, s[0:1]
	s_cbranch_vccnz .LBB17_32
; %bb.9:
	s_load_dword s0, s[4:5], 0x90
	s_load_dwordx4 s[16:19], s[4:5], 0x8
	s_add_u32 s1, s4, 0x90
	s_addc_u32 s3, s5, 0
	v_mov_b32_e32 v5, 0
	s_waitcnt lgkmcnt(0)
	s_cmp_lt_u32 s6, s0
	s_cselect_b32 s2, 12, 18
	s_add_u32 s2, s1, s2
	s_addc_u32 s3, s3, 0
	global_load_ushort v2, v5, s[2:3]
	s_mov_b32 s28, 0
	s_waitcnt vmcnt(0)
	v_mul_lo_u32 v1, s6, v2
	v_add_u32_e32 v1, v1, v0
	v_lshrrev_b32_e32 v4, 4, v1
	v_cmp_gt_i64_e32 vcc, s[16:17], v[4:5]
	s_and_saveexec_b64 s[2:3], vcc
	s_cbranch_execz .LBB17_32
; %bb.10:
	s_load_dwordx8 s[8:15], s[4:5], 0x30
	s_load_dwordx4 s[24:27], s[4:5], 0x68
	s_load_dwordx2 s[30:31], s[4:5], 0x50
	v_and_b32_e32 v6, 7, v1
	v_mul_lo_u32 v2, s0, v2
	v_lshrrev_b32_e32 v20, 4, v2
	v_lshl_or_b32 v2, s7, 3, v6
	v_mov_b32_e32 v3, v5
	v_lshrrev_b32_e32 v7, 3, v1
	v_bfe_u32 v12, v1, 3, 1
	v_lshrrev_b32_e32 v8, 3, v0
	v_lshlrev_b64 v[0:1], 2, v[2:3]
	s_waitcnt lgkmcnt(0)
	v_mov_b32_e32 v14, s25
	v_add_co_u32_e32 v10, vcc, s24, v0
	v_mul_u32_u24_e32 v0, 24, v8
	v_addc_co_u32_e32 v11, vcc, v14, v1, vcc
	v_or_b32_e32 v23, 0x200, v0
	v_mad_u64_u32 v[0:1], s[6:7], v7, s26, 0
	v_lshlrev_b32_e32 v21, 6, v8
	v_mov_b32_e32 v8, v1
	v_mad_u64_u32 v[8:9], s[6:7], v7, s27, v[8:9]
	s_load_dword s0, s[4:5], 0x0
	v_mov_b32_e32 v1, v8
	v_lshlrev_b64 v[0:1], 2, v[0:1]
	v_add_co_u32_e32 v8, vcc, v10, v0
	s_cmp_lg_u32 s23, 0
	v_addc_co_u32_e32 v9, vcc, v11, v1, vcc
	v_mad_u64_u32 v[0:1], s[6:7], v2, s26, 0
	s_cselect_b64 s[2:3], -1, 0
	s_cmp_lg_u32 s20, 1
	v_mov_b32_e32 v10, v1
	s_cselect_b64 s[4:5], -1, 0
	s_waitcnt lgkmcnt(0)
	s_cmp_eq_u32 s0, 0
	v_cmp_gt_i64_e64 s[0:1], s[18:19], v[2:3]
	v_mad_u64_u32 v[10:11], s[6:7], v2, s27, v[10:11]
	v_lshlrev_b32_e32 v3, 2, v7
	v_mov_b32_e32 v1, v10
	v_add_co_u32_e32 v3, vcc, s24, v3
	v_addc_co_u32_e32 v7, vcc, 0, v14, vcc
	v_lshlrev_b64 v[0:1], 2, v[0:1]
	s_cselect_b64 s[6:7], -1, 0
	v_mov_b32_e32 v13, v5
	v_add_co_u32_e32 v10, vcc, v3, v0
	v_cndmask_b32_e64 v0, 0, 1, s[6:7]
	v_addc_co_u32_e32 v11, vcc, v7, v1, vcc
	v_lshlrev_b64 v[0:1], v0, v[12:13]
	v_pk_mov_b32 v[12:13], s[14:15], s[14:15] op_sel:[0,1]
	s_and_b64 s[6:7], s[6:7], exec
	v_mad_u64_u32 v[12:13], s[6:7], v2, s30, v[12:13]
	v_mov_b32_e32 v14, v13
	v_mad_u64_u32 v[2:3], s[6:7], v2, s31, v[14:15]
	v_subrev_co_u32_e32 v13, vcc, s21, v6
	v_mov_b32_e32 v7, v2
	v_subb_co_u32_e64 v25, s[6:7], 0, 0, vcc
	v_mov_b32_e32 v2, s13
	v_add_co_u32_e32 v26, vcc, s12, v0
	s_mov_b32 s25, s21
	v_lshl_or_b32 v22, v6, 3, v21
	v_mad_u32_u24 v24, v6, 3, v23
	s_cselect_b32 s20, 1, 2
	s_mov_b32 s24, s28
	v_addc_co_u32_e32 v27, vcc, v2, v1, vcc
	s_mov_b64 s[6:7], 0
	s_mov_b32 s21, 0x5040100
	s_mov_b32 s26, 0xc0c0100
	;; [unrolled: 1-line block ×3, first 2 shown]
	v_mov_b32_e32 v28, s9
	s_branch .LBB17_12
.LBB17_11:                              ;   in Loop: Header=BB17_12 Depth=1
	s_or_b64 exec, exec, s[12:13]
	v_add_co_u32_e32 v4, vcc, v4, v20
	v_addc_co_u32_e32 v5, vcc, 0, v5, vcc
	v_cmp_le_i64_e32 vcc, s[16:17], v[4:5]
	s_or_b64 s[6:7], vcc, s[6:7]
	s_andn2_b64 exec, exec, s[6:7]
	s_cbranch_execz .LBB17_32
.LBB17_12:                              ; =>This Loop Header: Depth=1
                                        ;     Child Loop BB17_15 Depth 2
	v_lshlrev_b64 v[0:1], 3, v[4:5]
	v_add_co_u32_e32 v0, vcc, s8, v0
	v_addc_co_u32_e32 v1, vcc, v28, v1, vcc
	global_load_dwordx4 v[0:3], v[0:1], off
	v_mov_b32_e32 v29, 0
	s_waitcnt vmcnt(0)
	v_cmp_lt_i64_e32 vcc, v[0:1], v[2:3]
	s_and_saveexec_b64 s[12:13], vcc
	s_cbranch_execz .LBB17_20
; %bb.13:                               ;   in Loop: Header=BB17_12 Depth=1
	v_mov_b32_e32 v15, s28
	v_subrev_co_u32_e32 v2, vcc, s25, v2
	v_subb_co_u32_e32 v3, vcc, v3, v15, vcc
	v_subrev_co_u32_e32 v14, vcc, s25, v0
	v_subb_co_u32_e32 v15, vcc, v1, v15, vcc
	v_add_co_u32_e32 v16, vcc, v13, v0
	v_addc_co_u32_e32 v17, vcc, v25, v1, vcc
	v_lshlrev_b64 v[0:1], 3, v[16:17]
	v_mov_b32_e32 v18, s11
	v_add_co_u32_e32 v0, vcc, s10, v0
	v_addc_co_u32_e32 v1, vcc, v18, v1, vcc
	v_lshlrev_b64 v[16:17], 2, v[16:17]
	v_add_co_u32_e32 v16, vcc, v26, v16
	v_addc_co_u32_e32 v17, vcc, v27, v17, vcc
	s_mov_b64 s[14:15], 0
	v_mov_b32_e32 v29, 0
	s_branch .LBB17_15
.LBB17_14:                              ;   in Loop: Header=BB17_15 Depth=2
	s_or_b64 exec, exec, s[18:19]
	v_add_co_u32_e32 v14, vcc, 8, v14
	v_addc_co_u32_e32 v15, vcc, 0, v15, vcc
	v_add_co_u32_e32 v0, vcc, 64, v0
	v_addc_co_u32_e32 v1, vcc, 0, v1, vcc
	v_cmp_ge_i64_e32 vcc, v[14:15], v[2:3]
	s_or_b64 s[14:15], vcc, s[14:15]
	v_add_co_u32_e32 v16, vcc, 32, v16
	v_addc_co_u32_e32 v17, vcc, 0, v17, vcc
	s_andn2_b64 exec, exec, s[14:15]
	s_cbranch_execz .LBB17_19
.LBB17_15:                              ;   Parent Loop BB17_12 Depth=1
                                        ; =>  This Inner Loop Header: Depth=2
	v_add_co_u32_e32 v18, vcc, v6, v14
	v_addc_co_u32_e32 v19, vcc, 0, v15, vcc
	v_cmp_lt_i64_e32 vcc, v[18:19], v[2:3]
	v_pk_mov_b32 v[18:19], 0, 0
	v_mov_b32_e32 v30, 0
	v_mov_b32_e32 v31, 0
	s_and_saveexec_b64 s[18:19], vcc
	s_cbranch_execz .LBB17_17
; %bb.16:                               ;   in Loop: Header=BB17_15 Depth=2
	global_load_dwordx2 v[18:19], v[0:1], off
	v_mov_b32_e32 v30, s24
	v_add_co_u32_e32 v32, vcc, s20, v16
	v_addc_co_u32_e32 v33, vcc, v17, v30, vcc
	global_load_ubyte v30, v[16:17], off
	global_load_ubyte v31, v[32:33], off
	v_mov_b32_e32 v32, s28
	s_waitcnt vmcnt(2)
	v_subrev_co_u32_e32 v18, vcc, s25, v18
	v_subb_co_u32_e32 v19, vcc, v19, v32, vcc
	v_lshlrev_b64 v[18:19], 1, v[18:19]
.LBB17_17:                              ;   in Loop: Header=BB17_15 Depth=2
	s_or_b64 exec, exec, s[18:19]
	ds_write_b64 v22, v[18:19]
	s_waitcnt vmcnt(1)
	ds_write_b8 v24, v30
	s_waitcnt vmcnt(0)
	ds_write_b8 v24, v31 offset:1
	s_waitcnt lgkmcnt(0)
	; wave barrier
	s_waitcnt lgkmcnt(0)
	s_and_saveexec_b64 s[18:19], s[0:1]
	s_cbranch_execz .LBB17_14
; %bb.18:                               ;   in Loop: Header=BB17_15 Depth=2
	ds_read_b128 v[30:33], v21
	ds_read_b128 v[34:37], v21 offset:16
	ds_read_b128 v[38:41], v21 offset:32
	;; [unrolled: 1-line block ×3, first 2 shown]
	s_waitcnt lgkmcnt(3)
	v_add_co_u32_e32 v18, vcc, v12, v30
	v_addc_co_u32_e32 v19, vcc, v7, v31, vcc
	v_add_co_u32_e32 v30, vcc, v12, v32
	v_addc_co_u32_e32 v31, vcc, v7, v33, vcc
	s_waitcnt lgkmcnt(2)
	v_add_co_u32_e32 v32, vcc, v12, v34
	v_addc_co_u32_e32 v33, vcc, v7, v35, vcc
	v_add_co_u32_e32 v34, vcc, v12, v36
	v_addc_co_u32_e32 v35, vcc, v7, v37, vcc
	;; [unrolled: 5-line block ×4, first 2 shown]
	global_load_ushort v44, v[18:19], off
	global_load_ushort v45, v[30:31], off
	;; [unrolled: 1-line block ×8, first 2 shown]
	ds_read_u16 v18, v23
	ds_read_i8 v19, v23 offset:3
	ds_read_i8 v30, v23 offset:4
	ds_read_u16 v31, v23 offset:6
	ds_read_i8 v32, v23 offset:9
	ds_read_i8 v33, v23 offset:10
	ds_read_u16 v34, v23 offset:12
	;; [unrolled: 3-line block ×3, first 2 shown]
	ds_read_i8 v38, v23 offset:21
	ds_read_i8 v39, v23 offset:22
	s_waitcnt lgkmcnt(11)
	v_perm_b32 v18, v18, v18, s26
	s_waitcnt lgkmcnt(9)
	v_perm_b32 v19, v30, v19, s27
	;; [unrolled: 2-line block ×6, first 2 shown]
	v_or_b32_e32 v18, v19, v18
	v_or_b32_e32 v19, v31, v30
	;; [unrolled: 1-line block ×3, first 2 shown]
	s_waitcnt lgkmcnt(2)
	v_perm_b32 v34, v37, v37, s26
	s_waitcnt lgkmcnt(0)
	v_perm_b32 v35, v39, v38, s27
	s_waitcnt vmcnt(6)
	v_perm_b32 v31, v45, v44, s21
	v_dot4c_i32_i8_e32 v29, v31, v18
	s_waitcnt vmcnt(4)
	v_perm_b32 v32, v47, v46, s21
	v_dot4c_i32_i8_e32 v29, v32, v19
	;; [unrolled: 3-line block ×3, first 2 shown]
	s_waitcnt vmcnt(0)
	v_perm_b32 v36, v51, v50, s21
	v_or_b32_e32 v18, v35, v34
	v_dot4c_i32_i8_e32 v29, v36, v18
	s_branch .LBB17_14
.LBB17_19:                              ;   in Loop: Header=BB17_12 Depth=1
	s_or_b64 exec, exec, s[14:15]
.LBB17_20:                              ;   in Loop: Header=BB17_12 Depth=1
	s_or_b64 exec, exec, s[12:13]
	s_and_saveexec_b64 s[12:13], s[0:1]
	s_cbranch_execz .LBB17_11
; %bb.21:                               ;   in Loop: Header=BB17_12 Depth=1
	v_mul_lo_u32 v0, v29, s22
	s_mov_b64 s[14:15], -1
	s_and_b64 vcc, exec, s[2:3]
	s_cbranch_vccz .LBB17_27
; %bb.22:                               ;   in Loop: Header=BB17_12 Depth=1
	s_and_b64 vcc, exec, s[4:5]
	s_cbranch_vccz .LBB17_24
; %bb.23:                               ;   in Loop: Header=BB17_12 Depth=1
	global_load_dword v1, v[8:9], off
	s_waitcnt vmcnt(0)
	v_mad_u64_u32 v[2:3], s[14:15], v1, s23, v[0:1]
	global_store_dword v[8:9], v2, off
	s_mov_b64 s[14:15], 0
.LBB17_24:                              ;   in Loop: Header=BB17_12 Depth=1
	s_andn2_b64 vcc, exec, s[14:15]
	s_cbranch_vccnz .LBB17_26
; %bb.25:                               ;   in Loop: Header=BB17_12 Depth=1
	global_load_dword v1, v[10:11], off
	s_waitcnt vmcnt(0)
	v_mad_u64_u32 v[2:3], s[14:15], v1, s23, v[0:1]
	global_store_dword v[10:11], v2, off
.LBB17_26:                              ;   in Loop: Header=BB17_12 Depth=1
	s_mov_b64 s[14:15], 0
.LBB17_27:                              ;   in Loop: Header=BB17_12 Depth=1
	s_andn2_b64 vcc, exec, s[14:15]
	s_cbranch_vccnz .LBB17_11
; %bb.28:                               ;   in Loop: Header=BB17_12 Depth=1
	s_mov_b64 s[14:15], -1
	s_and_b64 vcc, exec, s[4:5]
	s_cbranch_vccz .LBB17_30
; %bb.29:                               ;   in Loop: Header=BB17_12 Depth=1
	global_store_dword v[8:9], v0, off
	s_mov_b64 s[14:15], 0
.LBB17_30:                              ;   in Loop: Header=BB17_12 Depth=1
	s_andn2_b64 vcc, exec, s[14:15]
	s_cbranch_vccnz .LBB17_11
; %bb.31:                               ;   in Loop: Header=BB17_12 Depth=1
	global_store_dword v[10:11], v0, off
	s_branch .LBB17_11
.LBB17_32:
	s_endpgm
	.section	.rodata,"a",@progbits
	.p2align	6, 0x0
	.amdhsa_kernel _ZN9rocsparseL29bsrmmnn_small_blockdim_kernelILj64ELj8ELj2EllaaiiEEv20rocsparse_direction_T3_S2_llNS_24const_host_device_scalarIT7_EEPKT2_PKS2_PKT4_PKT5_llS5_PT6_ll16rocsparse_order_21rocsparse_index_base_b
		.amdhsa_group_segment_fixed_size 704
		.amdhsa_private_segment_fixed_size 0
		.amdhsa_kernarg_size 400
		.amdhsa_user_sgpr_count 6
		.amdhsa_user_sgpr_private_segment_buffer 1
		.amdhsa_user_sgpr_dispatch_ptr 0
		.amdhsa_user_sgpr_queue_ptr 0
		.amdhsa_user_sgpr_kernarg_segment_ptr 1
		.amdhsa_user_sgpr_dispatch_id 0
		.amdhsa_user_sgpr_flat_scratch_init 0
		.amdhsa_user_sgpr_kernarg_preload_length 0
		.amdhsa_user_sgpr_kernarg_preload_offset 0
		.amdhsa_user_sgpr_private_segment_size 0
		.amdhsa_uses_dynamic_stack 0
		.amdhsa_system_sgpr_private_segment_wavefront_offset 0
		.amdhsa_system_sgpr_workgroup_id_x 1
		.amdhsa_system_sgpr_workgroup_id_y 1
		.amdhsa_system_sgpr_workgroup_id_z 0
		.amdhsa_system_sgpr_workgroup_info 0
		.amdhsa_system_vgpr_workitem_id 0
		.amdhsa_next_free_vgpr 52
		.amdhsa_next_free_sgpr 32
		.amdhsa_accum_offset 52
		.amdhsa_reserve_vcc 1
		.amdhsa_reserve_flat_scratch 0
		.amdhsa_float_round_mode_32 0
		.amdhsa_float_round_mode_16_64 0
		.amdhsa_float_denorm_mode_32 3
		.amdhsa_float_denorm_mode_16_64 3
		.amdhsa_dx10_clamp 1
		.amdhsa_ieee_mode 1
		.amdhsa_fp16_overflow 0
		.amdhsa_tg_split 0
		.amdhsa_exception_fp_ieee_invalid_op 0
		.amdhsa_exception_fp_denorm_src 0
		.amdhsa_exception_fp_ieee_div_zero 0
		.amdhsa_exception_fp_ieee_overflow 0
		.amdhsa_exception_fp_ieee_underflow 0
		.amdhsa_exception_fp_ieee_inexact 0
		.amdhsa_exception_int_div_zero 0
	.end_amdhsa_kernel
	.section	.text._ZN9rocsparseL29bsrmmnn_small_blockdim_kernelILj64ELj8ELj2EllaaiiEEv20rocsparse_direction_T3_S2_llNS_24const_host_device_scalarIT7_EEPKT2_PKS2_PKT4_PKT5_llS5_PT6_ll16rocsparse_order_21rocsparse_index_base_b,"axG",@progbits,_ZN9rocsparseL29bsrmmnn_small_blockdim_kernelILj64ELj8ELj2EllaaiiEEv20rocsparse_direction_T3_S2_llNS_24const_host_device_scalarIT7_EEPKT2_PKS2_PKT4_PKT5_llS5_PT6_ll16rocsparse_order_21rocsparse_index_base_b,comdat
.Lfunc_end17:
	.size	_ZN9rocsparseL29bsrmmnn_small_blockdim_kernelILj64ELj8ELj2EllaaiiEEv20rocsparse_direction_T3_S2_llNS_24const_host_device_scalarIT7_EEPKT2_PKS2_PKT4_PKT5_llS5_PT6_ll16rocsparse_order_21rocsparse_index_base_b, .Lfunc_end17-_ZN9rocsparseL29bsrmmnn_small_blockdim_kernelILj64ELj8ELj2EllaaiiEEv20rocsparse_direction_T3_S2_llNS_24const_host_device_scalarIT7_EEPKT2_PKS2_PKT4_PKT5_llS5_PT6_ll16rocsparse_order_21rocsparse_index_base_b
                                        ; -- End function
	.section	.AMDGPU.csdata,"",@progbits
; Kernel info:
; codeLenInByte = 1612
; NumSgprs: 36
; NumVgprs: 52
; NumAgprs: 0
; TotalNumVgprs: 52
; ScratchSize: 0
; MemoryBound: 0
; FloatMode: 240
; IeeeMode: 1
; LDSByteSize: 704 bytes/workgroup (compile time only)
; SGPRBlocks: 4
; VGPRBlocks: 6
; NumSGPRsForWavesPerEU: 36
; NumVGPRsForWavesPerEU: 52
; AccumOffset: 52
; Occupancy: 8
; WaveLimiterHint : 1
; COMPUTE_PGM_RSRC2:SCRATCH_EN: 0
; COMPUTE_PGM_RSRC2:USER_SGPR: 6
; COMPUTE_PGM_RSRC2:TRAP_HANDLER: 0
; COMPUTE_PGM_RSRC2:TGID_X_EN: 1
; COMPUTE_PGM_RSRC2:TGID_Y_EN: 1
; COMPUTE_PGM_RSRC2:TGID_Z_EN: 0
; COMPUTE_PGM_RSRC2:TIDIG_COMP_CNT: 0
; COMPUTE_PGM_RSRC3_GFX90A:ACCUM_OFFSET: 12
; COMPUTE_PGM_RSRC3_GFX90A:TG_SPLIT: 0
	.section	.text._ZN9rocsparseL29bsrmmnn_small_blockdim_kernelILj64ELj8ELj2EiiaaffEEv20rocsparse_direction_T3_S2_llNS_24const_host_device_scalarIT7_EEPKT2_PKS2_PKT4_PKT5_llS5_PT6_ll16rocsparse_order_21rocsparse_index_base_b,"axG",@progbits,_ZN9rocsparseL29bsrmmnn_small_blockdim_kernelILj64ELj8ELj2EiiaaffEEv20rocsparse_direction_T3_S2_llNS_24const_host_device_scalarIT7_EEPKT2_PKS2_PKT4_PKT5_llS5_PT6_ll16rocsparse_order_21rocsparse_index_base_b,comdat
	.globl	_ZN9rocsparseL29bsrmmnn_small_blockdim_kernelILj64ELj8ELj2EiiaaffEEv20rocsparse_direction_T3_S2_llNS_24const_host_device_scalarIT7_EEPKT2_PKS2_PKT4_PKT5_llS5_PT6_ll16rocsparse_order_21rocsparse_index_base_b ; -- Begin function _ZN9rocsparseL29bsrmmnn_small_blockdim_kernelILj64ELj8ELj2EiiaaffEEv20rocsparse_direction_T3_S2_llNS_24const_host_device_scalarIT7_EEPKT2_PKS2_PKT4_PKT5_llS5_PT6_ll16rocsparse_order_21rocsparse_index_base_b
	.p2align	8
	.type	_ZN9rocsparseL29bsrmmnn_small_blockdim_kernelILj64ELj8ELj2EiiaaffEEv20rocsparse_direction_T3_S2_llNS_24const_host_device_scalarIT7_EEPKT2_PKS2_PKT4_PKT5_llS5_PT6_ll16rocsparse_order_21rocsparse_index_base_b,@function
_ZN9rocsparseL29bsrmmnn_small_blockdim_kernelILj64ELj8ELj2EiiaaffEEv20rocsparse_direction_T3_S2_llNS_24const_host_device_scalarIT7_EEPKT2_PKS2_PKT4_PKT5_llS5_PT6_ll16rocsparse_order_21rocsparse_index_base_b: ; @_ZN9rocsparseL29bsrmmnn_small_blockdim_kernelILj64ELj8ELj2EiiaaffEEv20rocsparse_direction_T3_S2_llNS_24const_host_device_scalarIT7_EEPKT2_PKS2_PKT4_PKT5_llS5_PT6_ll16rocsparse_order_21rocsparse_index_base_b
; %bb.0:
	s_load_dwordx4 s[16:19], s[4:5], 0x78
	s_load_dwordx2 s[2:3], s[4:5], 0x20
	s_load_dwordx2 s[28:29], s[4:5], 0x58
	s_waitcnt lgkmcnt(0)
	s_bitcmp1_b32 s18, 0
	s_cselect_b64 s[8:9], -1, 0
	s_xor_b64 s[0:1], s[8:9], -1
	s_and_b64 vcc, exec, s[8:9]
	s_cbranch_vccnz .LBB18_2
; %bb.1:
	s_load_dword s2, s[2:3], 0x0
.LBB18_2:
	s_andn2_b64 vcc, exec, s[0:1]
	s_cbranch_vccnz .LBB18_4
; %bb.3:
	s_load_dword s28, s[28:29], 0x0
.LBB18_4:
	s_waitcnt lgkmcnt(0)
	v_cmp_eq_f32_e64 s[0:1], s2, 0
	v_cmp_eq_f32_e64 s[8:9], s28, 1.0
	s_and_b64 s[0:1], s[0:1], s[8:9]
	s_and_b64 vcc, exec, s[0:1]
	s_cbranch_vccnz .LBB18_28
; %bb.5:
	s_load_dword s0, s[4:5], 0x88
	s_load_dwordx4 s[20:23], s[4:5], 0x0
	s_add_u32 s1, s4, 0x88
	s_addc_u32 s3, s5, 0
	v_mov_b32_e32 v3, 0
	s_waitcnt lgkmcnt(0)
	s_cmp_lt_u32 s6, s0
	s_cselect_b32 s8, 12, 18
	s_add_u32 s8, s1, s8
	s_addc_u32 s9, s3, 0
	global_load_ushort v4, v3, s[8:9]
	s_waitcnt vmcnt(0)
	v_mul_lo_u32 v1, s6, v4
	v_add_u32_e32 v1, v1, v0
	v_lshrrev_b32_e32 v2, 4, v1
	v_cmp_gt_i32_e32 vcc, s21, v2
	s_and_saveexec_b64 s[8:9], vcc
	s_cbranch_execz .LBB18_28
; %bb.6:
	s_load_dwordx8 s[8:15], s[4:5], 0x28
	v_and_b32_e32 v10, 7, v1
	s_load_dwordx4 s[24:27], s[4:5], 0x60
	s_load_dwordx2 s[18:19], s[4:5], 0x48
	v_lshl_or_b32 v6, s7, 3, v10
	v_mul_lo_u32 v4, s0, v4
	v_ashrrev_i32_e32 v7, 31, v6
	v_lshrrev_b32_e32 v11, 4, v4
	v_lshrrev_b32_e32 v16, 3, v1
	v_bfe_u32 v17, v1, 3, 1
	v_lshrrev_b32_e32 v4, 3, v0
	v_lshlrev_b64 v[0:1], 2, v[6:7]
	s_waitcnt lgkmcnt(0)
	v_mov_b32_e32 v18, s25
	v_add_co_u32_e32 v19, vcc, s24, v0
	v_mul_u32_u24_e32 v0, 24, v4
	v_addc_co_u32_e32 v20, vcc, v18, v1, vcc
	v_or_b32_e32 v14, 0x100, v0
	v_pk_mov_b32 v[0:1], s[14:15], s[14:15] op_sel:[0,1]
	v_lshlrev_b32_e32 v12, 5, v4
	v_mul_lo_u32 v4, v7, s18
	v_mul_lo_u32 v5, v6, s19
	v_mad_u64_u32 v[0:1], s[6:7], v6, s18, v[0:1]
	v_add3_u32 v1, v4, v1, v5
	v_mad_u64_u32 v[4:5], s[14:15], v16, s26, 0
	v_mov_b32_e32 v8, v5
	v_mad_u64_u32 v[8:9], s[14:15], v16, s27, v[8:9]
	v_mov_b32_e32 v5, v8
	v_cmp_gt_i32_e64 s[0:1], s22, v6
	v_lshlrev_b64 v[4:5], 2, v[4:5]
	v_mul_lo_u32 v8, v7, s26
	v_mul_lo_u32 v9, v6, s27
	v_mad_u64_u32 v[6:7], s[14:15], v6, s26, 0
	v_add_co_u32_e32 v4, vcc, v19, v4
	v_add3_u32 v7, v7, v9, v8
	s_cmp_lg_u32 s16, 1
	v_addc_co_u32_e32 v5, vcc, v20, v5, vcc
	v_lshlrev_b64 v[6:7], 2, v[6:7]
	s_cselect_b64 s[4:5], -1, 0
	s_cmp_eq_u32 s20, 0
	v_add_co_u32_e32 v6, vcc, s24, v6
	v_addc_co_u32_e32 v7, vcc, v18, v7, vcc
	v_lshlrev_b32_e32 v8, 2, v16
	s_cselect_b64 s[14:15], -1, 0
	v_add_co_u32_e32 v6, vcc, v6, v8
	v_cndmask_b32_e64 v8, 0, 1, s[14:15]
	s_and_b64 s[14:15], s[14:15], exec
	v_lshl_or_b32 v13, v10, 2, v12
	v_mad_u32_u24 v15, v10, 3, v14
	v_cmp_neq_f32_e64 s[6:7], s28, 0
	v_addc_co_u32_e32 v7, vcc, 0, v7, vcc
	s_cselect_b32 s3, 1, 2
	v_lshlrev_b32_e32 v16, v8, v17
	v_subrev_u32_e32 v17, s17, v10
	s_mov_b64 s[14:15], 0
	v_mov_b32_e32 v18, s9
	s_branch .LBB18_8
.LBB18_7:                               ;   in Loop: Header=BB18_8 Depth=1
	s_or_b64 exec, exec, s[18:19]
	v_add_u32_e32 v2, v2, v11
	v_cmp_le_i32_e32 vcc, s21, v2
	s_or_b64 s[14:15], vcc, s[14:15]
	s_andn2_b64 exec, exec, s[14:15]
	s_cbranch_execz .LBB18_28
.LBB18_8:                               ; =>This Loop Header: Depth=1
                                        ;     Child Loop BB18_11 Depth 2
	v_lshlrev_b64 v[8:9], 2, v[2:3]
	v_add_co_u32_e32 v8, vcc, s8, v8
	v_addc_co_u32_e32 v9, vcc, v18, v9, vcc
	global_load_dwordx2 v[8:9], v[8:9], off
	v_mov_b32_e32 v19, 0
	s_waitcnt vmcnt(0)
	v_cmp_lt_i32_e32 vcc, v8, v9
	s_and_saveexec_b64 s[18:19], vcc
	s_cbranch_execz .LBB18_16
; %bb.9:                                ;   in Loop: Header=BB18_8 Depth=1
	v_subrev_u32_e32 v21, s17, v8
	v_add_u32_e32 v8, v17, v8
	v_subrev_u32_e32 v20, s17, v9
	v_lshl_or_b32 v22, v8, 2, v16
	s_mov_b64 s[22:23], 0
	v_mov_b32_e32 v19, 0
	s_branch .LBB18_11
.LBB18_10:                              ;   in Loop: Header=BB18_11 Depth=2
	s_or_b64 exec, exec, s[24:25]
	v_add_u32_e32 v21, 8, v21
	v_cmp_ge_i32_e32 vcc, v21, v20
	s_or_b64 s[22:23], vcc, s[22:23]
	v_add_u32_e32 v22, 32, v22
	s_andn2_b64 exec, exec, s[22:23]
	s_cbranch_execz .LBB18_15
.LBB18_11:                              ;   Parent Loop BB18_8 Depth=1
                                        ; =>  This Inner Loop Header: Depth=2
	v_add_u32_e32 v8, v10, v21
	v_cmp_lt_i32_e32 vcc, v8, v20
	v_mov_b32_e32 v23, 0
	v_mov_b32_e32 v9, 0
	;; [unrolled: 1-line block ×3, first 2 shown]
	s_and_saveexec_b64 s[24:25], vcc
	s_cbranch_execz .LBB18_13
; %bb.12:                               ;   in Loop: Header=BB18_11 Depth=2
	v_ashrrev_i32_e32 v9, 31, v8
	v_add_u32_e32 v24, s3, v22
	v_lshlrev_b64 v[8:9], 2, v[8:9]
	global_load_sbyte v26, v24, s[12:13]
	v_mov_b32_e32 v23, s11
	v_add_co_u32_e32 v24, vcc, s10, v8
	v_addc_co_u32_e32 v25, vcc, v23, v9, vcc
	global_load_dword v8, v[24:25], off
	global_load_ubyte v9, v22, s[12:13]
	s_waitcnt vmcnt(2)
	v_cvt_f32_i32_e32 v24, v26
	s_waitcnt vmcnt(1)
	v_subrev_u32_e32 v8, s17, v8
	v_lshlrev_b32_e32 v23, 1, v8
.LBB18_13:                              ;   in Loop: Header=BB18_11 Depth=2
	s_or_b64 exec, exec, s[24:25]
	v_cvt_i32_f32_e32 v8, v24
	ds_write_b32 v13, v23
	s_waitcnt vmcnt(0)
	ds_write_b8 v15, v9
	ds_write_b8 v15, v8 offset:1
	s_waitcnt lgkmcnt(0)
	; wave barrier
	s_waitcnt lgkmcnt(0)
	s_and_saveexec_b64 s[24:25], s[0:1]
	s_cbranch_execz .LBB18_10
; %bb.14:                               ;   in Loop: Header=BB18_11 Depth=2
	ds_read_b128 v[24:27], v12
	ds_read_b128 v[28:31], v12 offset:16
	s_waitcnt lgkmcnt(1)
	v_ashrrev_i32_e32 v9, 31, v24
	v_add_co_u32_e32 v8, vcc, v0, v24
	v_addc_co_u32_e32 v9, vcc, v1, v9, vcc
	v_ashrrev_i32_e32 v23, 31, v25
	v_add_co_u32_e32 v24, vcc, v0, v25
	v_addc_co_u32_e32 v25, vcc, v1, v23, vcc
	;; [unrolled: 3-line block ×3, first 2 shown]
	global_load_ushort v23, v[8:9], off
	global_load_ushort v26, v[24:25], off
	;; [unrolled: 1-line block ×3, first 2 shown]
	v_ashrrev_i32_e32 v9, 31, v27
	v_add_co_u32_e32 v8, vcc, v0, v27
	v_addc_co_u32_e32 v9, vcc, v1, v9, vcc
	global_load_ushort v24, v[8:9], off
	s_waitcnt lgkmcnt(0)
	v_ashrrev_i32_e32 v9, 31, v28
	v_add_co_u32_e32 v8, vcc, v0, v28
	v_addc_co_u32_e32 v9, vcc, v1, v9, vcc
	v_ashrrev_i32_e32 v25, 31, v29
	global_load_ushort v27, v[8:9], off
	v_add_co_u32_e32 v8, vcc, v0, v29
	v_addc_co_u32_e32 v9, vcc, v1, v25, vcc
	global_load_ushort v25, v[8:9], off
	v_ashrrev_i32_e32 v9, 31, v30
	v_add_co_u32_e32 v8, vcc, v0, v30
	v_addc_co_u32_e32 v9, vcc, v1, v9, vcc
	v_ashrrev_i32_e32 v28, 31, v31
	global_load_ushort v29, v[8:9], off
	v_add_co_u32_e32 v8, vcc, v0, v31
	v_addc_co_u32_e32 v9, vcc, v1, v28, vcc
	global_load_ushort v8, v[8:9], off
	ds_read_u16 v9, v14
	ds_read_i8 v28, v14 offset:3
	ds_read_i8 v30, v14 offset:4
	ds_read_u16 v31, v14 offset:6
	ds_read_i8 v32, v14 offset:9
	ds_read_i8 v33, v14 offset:10
	ds_read_u16 v35, v14 offset:12
	;; [unrolled: 3-line block ×3, first 2 shown]
	ds_read_i8 v39, v14 offset:21
	ds_read_i8 v40, v14 offset:22
	s_waitcnt lgkmcnt(11)
	v_bfe_i32 v41, v9, 0, 8
	v_ashrrev_i16_e32 v9, 8, v9
	v_cvt_f32_i32_sdwa v41, sext(v41) dst_sel:DWORD dst_unused:UNUSED_PAD src0_sel:WORD_0
	v_cvt_f32_i32_sdwa v9, sext(v9) dst_sel:DWORD dst_unused:UNUSED_PAD src0_sel:WORD_0
	s_waitcnt lgkmcnt(10)
	v_cvt_f32_i32_e32 v28, v28
	s_waitcnt lgkmcnt(9)
	v_cvt_f32_i32_e32 v30, v30
	s_waitcnt lgkmcnt(8)
	v_bfe_i32 v42, v31, 0, 8
	v_ashrrev_i16_e32 v31, 8, v31
	v_cvt_f32_i32_sdwa v42, sext(v42) dst_sel:DWORD dst_unused:UNUSED_PAD src0_sel:WORD_0
	v_cvt_f32_i32_sdwa v31, sext(v31) dst_sel:DWORD dst_unused:UNUSED_PAD src0_sel:WORD_0
	s_waitcnt lgkmcnt(7)
	v_cvt_f32_i32_e32 v32, v32
	s_waitcnt lgkmcnt(6)
	v_cvt_f32_i32_e32 v33, v33
	s_waitcnt lgkmcnt(5)
	v_bfe_i32 v43, v35, 0, 8
	v_ashrrev_i16_e32 v35, 8, v35
	s_waitcnt vmcnt(7)
	v_bfe_i32 v44, v23, 0, 8
	v_ashrrev_i16_e32 v23, 8, v23
	v_cvt_f32_i32_sdwa v44, sext(v44) dst_sel:DWORD dst_unused:UNUSED_PAD src0_sel:WORD_0
	s_waitcnt vmcnt(6)
	v_bfe_i32 v45, v26, 0, 8
	v_cvt_f32_i32_sdwa v23, sext(v23) dst_sel:DWORD dst_unused:UNUSED_PAD src0_sel:WORD_0
	v_ashrrev_i16_e32 v26, 8, v26
	v_cvt_f32_i32_sdwa v45, sext(v45) dst_sel:DWORD dst_unused:UNUSED_PAD src0_sel:WORD_0
	s_waitcnt vmcnt(5)
	v_bfe_i32 v46, v34, 0, 8
	v_cvt_f32_i32_sdwa v26, sext(v26) dst_sel:DWORD dst_unused:UNUSED_PAD src0_sel:WORD_0
	v_ashrrev_i16_e32 v34, 8, v34
	v_cvt_f32_i32_sdwa v46, sext(v46) dst_sel:DWORD dst_unused:UNUSED_PAD src0_sel:WORD_0
	v_fmac_f32_e32 v19, v41, v44
	s_waitcnt vmcnt(4)
	v_bfe_i32 v47, v24, 0, 8
	v_cvt_f32_i32_sdwa v34, sext(v34) dst_sel:DWORD dst_unused:UNUSED_PAD src0_sel:WORD_0
	v_fmac_f32_e32 v19, v9, v23
	v_ashrrev_i16_e32 v24, 8, v24
	v_cvt_f32_i32_sdwa v47, sext(v47) dst_sel:DWORD dst_unused:UNUSED_PAD src0_sel:WORD_0
	v_fmac_f32_e32 v19, v28, v45
	v_cvt_f32_i32_sdwa v24, sext(v24) dst_sel:DWORD dst_unused:UNUSED_PAD src0_sel:WORD_0
	v_fmac_f32_e32 v19, v30, v26
	v_fmac_f32_e32 v19, v42, v46
	s_waitcnt vmcnt(3)
	v_bfe_i32 v26, v27, 0, 8
	v_fmac_f32_e32 v19, v31, v34
	v_cvt_f32_i32_sdwa v9, sext(v43) dst_sel:DWORD dst_unused:UNUSED_PAD src0_sel:WORD_0
	v_ashrrev_i16_e32 v27, 8, v27
	v_cvt_f32_i32_sdwa v26, sext(v26) dst_sel:DWORD dst_unused:UNUSED_PAD src0_sel:WORD_0
	v_fmac_f32_e32 v19, v32, v47
	v_cvt_f32_i32_sdwa v23, sext(v35) dst_sel:DWORD dst_unused:UNUSED_PAD src0_sel:WORD_0
	v_cvt_f32_i32_sdwa v27, sext(v27) dst_sel:DWORD dst_unused:UNUSED_PAD src0_sel:WORD_0
	s_waitcnt vmcnt(2)
	v_bfe_i32 v28, v25, 0, 8
	v_fmac_f32_e32 v19, v33, v24
	s_waitcnt lgkmcnt(4)
	v_cvt_f32_i32_e32 v24, v36
	v_ashrrev_i16_e32 v25, 8, v25
	v_cvt_f32_i32_sdwa v28, sext(v28) dst_sel:DWORD dst_unused:UNUSED_PAD src0_sel:WORD_0
	s_waitcnt lgkmcnt(3)
	v_cvt_f32_i32_e32 v30, v37
	v_cvt_f32_i32_sdwa v25, sext(v25) dst_sel:DWORD dst_unused:UNUSED_PAD src0_sel:WORD_0
	v_fmac_f32_e32 v19, v9, v26
	v_fmac_f32_e32 v19, v23, v27
	;; [unrolled: 1-line block ×4, first 2 shown]
	s_waitcnt lgkmcnt(2)
	v_bfe_i32 v9, v38, 0, 8
	s_waitcnt vmcnt(1)
	v_bfe_i32 v25, v29, 0, 8
	v_ashrrev_i16_e32 v23, 8, v38
	v_cvt_f32_i32_sdwa v9, sext(v9) dst_sel:DWORD dst_unused:UNUSED_PAD src0_sel:WORD_0
	v_ashrrev_i16_e32 v26, 8, v29
	v_cvt_f32_i32_sdwa v25, sext(v25) dst_sel:DWORD dst_unused:UNUSED_PAD src0_sel:WORD_0
	v_cvt_f32_i32_sdwa v23, sext(v23) dst_sel:DWORD dst_unused:UNUSED_PAD src0_sel:WORD_0
	;; [unrolled: 1-line block ×3, first 2 shown]
	s_waitcnt vmcnt(0)
	v_bfe_i32 v27, v8, 0, 8
	s_waitcnt lgkmcnt(1)
	v_cvt_f32_i32_e32 v24, v39
	v_ashrrev_i16_e32 v8, 8, v8
	v_cvt_f32_i32_sdwa v27, sext(v27) dst_sel:DWORD dst_unused:UNUSED_PAD src0_sel:WORD_0
	s_waitcnt lgkmcnt(0)
	v_cvt_f32_i32_e32 v28, v40
	v_cvt_f32_i32_sdwa v8, sext(v8) dst_sel:DWORD dst_unused:UNUSED_PAD src0_sel:WORD_0
	v_fmac_f32_e32 v19, v9, v25
	v_fmac_f32_e32 v19, v23, v26
	;; [unrolled: 1-line block ×4, first 2 shown]
	s_branch .LBB18_10
.LBB18_15:                              ;   in Loop: Header=BB18_8 Depth=1
	s_or_b64 exec, exec, s[22:23]
.LBB18_16:                              ;   in Loop: Header=BB18_8 Depth=1
	s_or_b64 exec, exec, s[18:19]
	s_and_saveexec_b64 s[18:19], s[0:1]
	s_cbranch_execz .LBB18_7
; %bb.17:                               ;   in Loop: Header=BB18_8 Depth=1
	v_mul_f32_e32 v8, s2, v19
	s_mov_b64 s[22:23], -1
	s_and_b64 vcc, exec, s[6:7]
	s_cbranch_vccz .LBB18_23
; %bb.18:                               ;   in Loop: Header=BB18_8 Depth=1
	s_and_b64 vcc, exec, s[4:5]
	s_cbranch_vccz .LBB18_20
; %bb.19:                               ;   in Loop: Header=BB18_8 Depth=1
	global_load_dword v9, v[4:5], off
	s_mov_b64 s[22:23], 0
	s_waitcnt vmcnt(0)
	v_fma_f32 v9, s28, v9, v8
	global_store_dword v[4:5], v9, off
.LBB18_20:                              ;   in Loop: Header=BB18_8 Depth=1
	s_andn2_b64 vcc, exec, s[22:23]
	s_cbranch_vccnz .LBB18_22
; %bb.21:                               ;   in Loop: Header=BB18_8 Depth=1
	global_load_dword v9, v[6:7], off
	s_waitcnt vmcnt(0)
	v_fma_f32 v9, s28, v9, v8
	global_store_dword v[6:7], v9, off
.LBB18_22:                              ;   in Loop: Header=BB18_8 Depth=1
	s_mov_b64 s[22:23], 0
.LBB18_23:                              ;   in Loop: Header=BB18_8 Depth=1
	s_andn2_b64 vcc, exec, s[22:23]
	s_cbranch_vccnz .LBB18_7
; %bb.24:                               ;   in Loop: Header=BB18_8 Depth=1
	s_mov_b64 s[22:23], -1
	s_and_b64 vcc, exec, s[4:5]
	s_cbranch_vccz .LBB18_26
; %bb.25:                               ;   in Loop: Header=BB18_8 Depth=1
	global_store_dword v[4:5], v8, off
	s_mov_b64 s[22:23], 0
.LBB18_26:                              ;   in Loop: Header=BB18_8 Depth=1
	s_andn2_b64 vcc, exec, s[22:23]
	s_cbranch_vccnz .LBB18_7
; %bb.27:                               ;   in Loop: Header=BB18_8 Depth=1
	global_store_dword v[6:7], v8, off
	s_branch .LBB18_7
.LBB18_28:
	s_endpgm
	.section	.rodata,"a",@progbits
	.p2align	6, 0x0
	.amdhsa_kernel _ZN9rocsparseL29bsrmmnn_small_blockdim_kernelILj64ELj8ELj2EiiaaffEEv20rocsparse_direction_T3_S2_llNS_24const_host_device_scalarIT7_EEPKT2_PKS2_PKT4_PKT5_llS5_PT6_ll16rocsparse_order_21rocsparse_index_base_b
		.amdhsa_group_segment_fixed_size 448
		.amdhsa_private_segment_fixed_size 0
		.amdhsa_kernarg_size 392
		.amdhsa_user_sgpr_count 6
		.amdhsa_user_sgpr_private_segment_buffer 1
		.amdhsa_user_sgpr_dispatch_ptr 0
		.amdhsa_user_sgpr_queue_ptr 0
		.amdhsa_user_sgpr_kernarg_segment_ptr 1
		.amdhsa_user_sgpr_dispatch_id 0
		.amdhsa_user_sgpr_flat_scratch_init 0
		.amdhsa_user_sgpr_kernarg_preload_length 0
		.amdhsa_user_sgpr_kernarg_preload_offset 0
		.amdhsa_user_sgpr_private_segment_size 0
		.amdhsa_uses_dynamic_stack 0
		.amdhsa_system_sgpr_private_segment_wavefront_offset 0
		.amdhsa_system_sgpr_workgroup_id_x 1
		.amdhsa_system_sgpr_workgroup_id_y 1
		.amdhsa_system_sgpr_workgroup_id_z 0
		.amdhsa_system_sgpr_workgroup_info 0
		.amdhsa_system_vgpr_workitem_id 0
		.amdhsa_next_free_vgpr 48
		.amdhsa_next_free_sgpr 30
		.amdhsa_accum_offset 48
		.amdhsa_reserve_vcc 1
		.amdhsa_reserve_flat_scratch 0
		.amdhsa_float_round_mode_32 0
		.amdhsa_float_round_mode_16_64 0
		.amdhsa_float_denorm_mode_32 3
		.amdhsa_float_denorm_mode_16_64 3
		.amdhsa_dx10_clamp 1
		.amdhsa_ieee_mode 1
		.amdhsa_fp16_overflow 0
		.amdhsa_tg_split 0
		.amdhsa_exception_fp_ieee_invalid_op 0
		.amdhsa_exception_fp_denorm_src 0
		.amdhsa_exception_fp_ieee_div_zero 0
		.amdhsa_exception_fp_ieee_overflow 0
		.amdhsa_exception_fp_ieee_underflow 0
		.amdhsa_exception_fp_ieee_inexact 0
		.amdhsa_exception_int_div_zero 0
	.end_amdhsa_kernel
	.section	.text._ZN9rocsparseL29bsrmmnn_small_blockdim_kernelILj64ELj8ELj2EiiaaffEEv20rocsparse_direction_T3_S2_llNS_24const_host_device_scalarIT7_EEPKT2_PKS2_PKT4_PKT5_llS5_PT6_ll16rocsparse_order_21rocsparse_index_base_b,"axG",@progbits,_ZN9rocsparseL29bsrmmnn_small_blockdim_kernelILj64ELj8ELj2EiiaaffEEv20rocsparse_direction_T3_S2_llNS_24const_host_device_scalarIT7_EEPKT2_PKS2_PKT4_PKT5_llS5_PT6_ll16rocsparse_order_21rocsparse_index_base_b,comdat
.Lfunc_end18:
	.size	_ZN9rocsparseL29bsrmmnn_small_blockdim_kernelILj64ELj8ELj2EiiaaffEEv20rocsparse_direction_T3_S2_llNS_24const_host_device_scalarIT7_EEPKT2_PKS2_PKT4_PKT5_llS5_PT6_ll16rocsparse_order_21rocsparse_index_base_b, .Lfunc_end18-_ZN9rocsparseL29bsrmmnn_small_blockdim_kernelILj64ELj8ELj2EiiaaffEEv20rocsparse_direction_T3_S2_llNS_24const_host_device_scalarIT7_EEPKT2_PKS2_PKT4_PKT5_llS5_PT6_ll16rocsparse_order_21rocsparse_index_base_b
                                        ; -- End function
	.section	.AMDGPU.csdata,"",@progbits
; Kernel info:
; codeLenInByte = 1772
; NumSgprs: 34
; NumVgprs: 48
; NumAgprs: 0
; TotalNumVgprs: 48
; ScratchSize: 0
; MemoryBound: 0
; FloatMode: 240
; IeeeMode: 1
; LDSByteSize: 448 bytes/workgroup (compile time only)
; SGPRBlocks: 4
; VGPRBlocks: 5
; NumSGPRsForWavesPerEU: 34
; NumVGPRsForWavesPerEU: 48
; AccumOffset: 48
; Occupancy: 8
; WaveLimiterHint : 0
; COMPUTE_PGM_RSRC2:SCRATCH_EN: 0
; COMPUTE_PGM_RSRC2:USER_SGPR: 6
; COMPUTE_PGM_RSRC2:TRAP_HANDLER: 0
; COMPUTE_PGM_RSRC2:TGID_X_EN: 1
; COMPUTE_PGM_RSRC2:TGID_Y_EN: 1
; COMPUTE_PGM_RSRC2:TGID_Z_EN: 0
; COMPUTE_PGM_RSRC2:TIDIG_COMP_CNT: 0
; COMPUTE_PGM_RSRC3_GFX90A:ACCUM_OFFSET: 11
; COMPUTE_PGM_RSRC3_GFX90A:TG_SPLIT: 0
	.section	.text._ZN9rocsparseL29bsrmmnn_small_blockdim_kernelILj64ELj8ELj2EliaaffEEv20rocsparse_direction_T3_S2_llNS_24const_host_device_scalarIT7_EEPKT2_PKS2_PKT4_PKT5_llS5_PT6_ll16rocsparse_order_21rocsparse_index_base_b,"axG",@progbits,_ZN9rocsparseL29bsrmmnn_small_blockdim_kernelILj64ELj8ELj2EliaaffEEv20rocsparse_direction_T3_S2_llNS_24const_host_device_scalarIT7_EEPKT2_PKS2_PKT4_PKT5_llS5_PT6_ll16rocsparse_order_21rocsparse_index_base_b,comdat
	.globl	_ZN9rocsparseL29bsrmmnn_small_blockdim_kernelILj64ELj8ELj2EliaaffEEv20rocsparse_direction_T3_S2_llNS_24const_host_device_scalarIT7_EEPKT2_PKS2_PKT4_PKT5_llS5_PT6_ll16rocsparse_order_21rocsparse_index_base_b ; -- Begin function _ZN9rocsparseL29bsrmmnn_small_blockdim_kernelILj64ELj8ELj2EliaaffEEv20rocsparse_direction_T3_S2_llNS_24const_host_device_scalarIT7_EEPKT2_PKS2_PKT4_PKT5_llS5_PT6_ll16rocsparse_order_21rocsparse_index_base_b
	.p2align	8
	.type	_ZN9rocsparseL29bsrmmnn_small_blockdim_kernelILj64ELj8ELj2EliaaffEEv20rocsparse_direction_T3_S2_llNS_24const_host_device_scalarIT7_EEPKT2_PKS2_PKT4_PKT5_llS5_PT6_ll16rocsparse_order_21rocsparse_index_base_b,@function
_ZN9rocsparseL29bsrmmnn_small_blockdim_kernelILj64ELj8ELj2EliaaffEEv20rocsparse_direction_T3_S2_llNS_24const_host_device_scalarIT7_EEPKT2_PKS2_PKT4_PKT5_llS5_PT6_ll16rocsparse_order_21rocsparse_index_base_b: ; @_ZN9rocsparseL29bsrmmnn_small_blockdim_kernelILj64ELj8ELj2EliaaffEEv20rocsparse_direction_T3_S2_llNS_24const_host_device_scalarIT7_EEPKT2_PKS2_PKT4_PKT5_llS5_PT6_ll16rocsparse_order_21rocsparse_index_base_b
; %bb.0:
	s_load_dwordx4 s[16:19], s[4:5], 0x78
	s_load_dwordx2 s[2:3], s[4:5], 0x20
	s_load_dwordx2 s[28:29], s[4:5], 0x58
	s_waitcnt lgkmcnt(0)
	s_bitcmp1_b32 s18, 0
	s_cselect_b64 s[8:9], -1, 0
	s_xor_b64 s[0:1], s[8:9], -1
	s_and_b64 vcc, exec, s[8:9]
	s_cbranch_vccnz .LBB19_2
; %bb.1:
	s_load_dword s2, s[2:3], 0x0
.LBB19_2:
	s_andn2_b64 vcc, exec, s[0:1]
	s_cbranch_vccnz .LBB19_4
; %bb.3:
	s_load_dword s28, s[28:29], 0x0
.LBB19_4:
	s_waitcnt lgkmcnt(0)
	v_cmp_eq_f32_e64 s[0:1], s2, 0
	v_cmp_eq_f32_e64 s[8:9], s28, 1.0
	s_and_b64 s[0:1], s[0:1], s[8:9]
	s_and_b64 vcc, exec, s[0:1]
	s_cbranch_vccnz .LBB19_28
; %bb.5:
	s_load_dword s0, s[4:5], 0x88
	s_load_dwordx4 s[20:23], s[4:5], 0x0
	s_add_u32 s1, s4, 0x88
	s_addc_u32 s3, s5, 0
	v_mov_b32_e32 v5, 0
	s_waitcnt lgkmcnt(0)
	s_cmp_lt_u32 s6, s0
	s_cselect_b32 s8, 12, 18
	s_add_u32 s8, s1, s8
	s_addc_u32 s9, s3, 0
	global_load_ushort v2, v5, s[8:9]
	s_waitcnt vmcnt(0)
	v_mul_lo_u32 v1, s6, v2
	v_add_u32_e32 v1, v1, v0
	v_lshrrev_b32_e32 v4, 4, v1
	v_cmp_gt_i32_e32 vcc, s21, v4
	s_and_saveexec_b64 s[8:9], vcc
	s_cbranch_execz .LBB19_28
; %bb.6:
	s_load_dwordx8 s[8:15], s[4:5], 0x28
	v_mul_lo_u32 v2, s0, v2
	s_load_dwordx4 s[24:27], s[4:5], 0x60
	s_load_dwordx2 s[18:19], s[4:5], 0x48
	v_and_b32_e32 v6, 7, v1
	v_lshrrev_b32_e32 v7, 4, v2
	v_lshl_or_b32 v2, s7, 3, v6
	v_lshrrev_b32_e32 v0, 3, v0
	v_ashrrev_i32_e32 v3, 31, v2
	v_lshlrev_b64 v[8:9], 2, v[2:3]
	v_lshlrev_b32_e32 v18, 5, v0
	v_mul_u32_u24_e32 v0, 24, v0
	s_waitcnt lgkmcnt(0)
	v_mov_b32_e32 v12, s25
	v_add_co_u32_e32 v13, vcc, s24, v8
	v_lshrrev_b32_e32 v15, 3, v1
	v_bfe_u32 v16, v1, 3, 1
	v_or_b32_e32 v20, 0x100, v0
	v_pk_mov_b32 v[0:1], s[14:15], s[14:15] op_sel:[0,1]
	v_addc_co_u32_e32 v14, vcc, v12, v9, vcc
	v_mul_lo_u32 v10, v3, s18
	v_mul_lo_u32 v11, v2, s19
	v_mad_u64_u32 v[8:9], s[6:7], v2, s18, v[0:1]
	v_mad_u64_u32 v[0:1], s[14:15], v15, s26, 0
	v_add3_u32 v9, v10, v9, v11
	v_mov_b32_e32 v10, v1
	v_mad_u64_u32 v[10:11], s[14:15], v15, s27, v[10:11]
	v_mov_b32_e32 v1, v10
	v_lshlrev_b64 v[0:1], 2, v[0:1]
	v_add_co_u32_e32 v10, vcc, v13, v0
	v_addc_co_u32_e32 v11, vcc, v14, v1, vcc
	v_mul_lo_u32 v3, v3, s26
	v_mul_lo_u32 v13, v2, s27
	v_mad_u64_u32 v[0:1], s[14:15], v2, s26, 0
	v_add3_u32 v1, v1, v13, v3
	v_lshlrev_b64 v[0:1], 2, v[0:1]
	s_cmp_lg_u32 s16, 1
	v_add_co_u32_e32 v0, vcc, s24, v0
	s_cselect_b64 s[4:5], -1, 0
	s_cmp_eq_u32 s20, 0
	v_cmp_gt_i32_e64 s[0:1], s22, v2
	v_addc_co_u32_e32 v1, vcc, v12, v1, vcc
	v_lshlrev_b32_e32 v2, 2, v15
	v_add_co_u32_e32 v12, vcc, v0, v2
	s_cselect_b64 s[14:15], -1, 0
	v_addc_co_u32_e32 v13, vcc, 0, v1, vcc
	v_cndmask_b32_e64 v0, 0, 1, s[14:15]
	v_lshlrev_b32_e32 v0, v0, v16
	v_subrev_co_u32_e32 v22, vcc, s17, v6
	s_mov_b32 s3, 0
	s_and_b64 s[14:15], s[14:15], exec
	v_subb_co_u32_e64 v23, s[14:15], 0, 0, vcc
	v_mov_b32_e32 v1, s13
	v_add_co_u32_e32 v24, vcc, s12, v0
	s_mov_b32 s25, s17
	v_lshl_or_b32 v19, v6, 2, v18
	v_mad_u32_u24 v21, v6, 3, v20
	v_cmp_neq_f32_e64 s[6:7], s28, 0
	s_cselect_b32 s16, 1, 2
	s_mov_b32 s20, s3
	v_addc_co_u32_e32 v25, vcc, 0, v1, vcc
	s_mov_b64 s[12:13], 0
	v_mov_b32_e32 v26, s9
	s_branch .LBB19_8
.LBB19_7:                               ;   in Loop: Header=BB19_8 Depth=1
	s_or_b64 exec, exec, s[14:15]
	v_add_u32_e32 v4, v4, v7
	v_cmp_le_i32_e32 vcc, s21, v4
	s_or_b64 s[12:13], vcc, s[12:13]
	s_andn2_b64 exec, exec, s[12:13]
	s_cbranch_execz .LBB19_28
.LBB19_8:                               ; =>This Loop Header: Depth=1
                                        ;     Child Loop BB19_11 Depth 2
	v_lshlrev_b64 v[0:1], 3, v[4:5]
	v_add_co_u32_e32 v0, vcc, s8, v0
	v_addc_co_u32_e32 v1, vcc, v26, v1, vcc
	global_load_dwordx4 v[0:3], v[0:1], off
	v_mov_b32_e32 v27, 0
	s_waitcnt vmcnt(0)
	v_cmp_lt_i64_e32 vcc, v[0:1], v[2:3]
	s_and_saveexec_b64 s[14:15], vcc
	s_cbranch_execz .LBB19_16
; %bb.9:                                ;   in Loop: Header=BB19_8 Depth=1
	v_mov_b32_e32 v15, s3
	v_subrev_co_u32_e32 v2, vcc, s25, v2
	v_subb_co_u32_e32 v3, vcc, v3, v15, vcc
	v_subrev_co_u32_e32 v14, vcc, s25, v0
	v_subb_co_u32_e32 v15, vcc, v1, v15, vcc
	v_add_co_u32_e32 v0, vcc, v22, v0
	v_addc_co_u32_e32 v1, vcc, v23, v1, vcc
	v_lshlrev_b64 v[16:17], 2, v[0:1]
	v_mov_b32_e32 v1, s11
	v_add_co_u32_e32 v0, vcc, s10, v16
	v_addc_co_u32_e32 v1, vcc, v1, v17, vcc
	v_add_co_u32_e32 v16, vcc, v24, v16
	v_addc_co_u32_e32 v17, vcc, v25, v17, vcc
	s_mov_b64 s[18:19], 0
	v_mov_b32_e32 v27, 0
	s_branch .LBB19_11
.LBB19_10:                              ;   in Loop: Header=BB19_11 Depth=2
	s_or_b64 exec, exec, s[22:23]
	v_add_co_u32_e32 v14, vcc, 8, v14
	v_addc_co_u32_e32 v15, vcc, 0, v15, vcc
	v_add_co_u32_e32 v0, vcc, 32, v0
	v_addc_co_u32_e32 v1, vcc, 0, v1, vcc
	v_cmp_ge_i64_e32 vcc, v[14:15], v[2:3]
	s_or_b64 s[18:19], vcc, s[18:19]
	v_add_co_u32_e32 v16, vcc, 32, v16
	v_addc_co_u32_e32 v17, vcc, 0, v17, vcc
	s_andn2_b64 exec, exec, s[18:19]
	s_cbranch_execz .LBB19_15
.LBB19_11:                              ;   Parent Loop BB19_8 Depth=1
                                        ; =>  This Inner Loop Header: Depth=2
	v_add_co_u32_e32 v28, vcc, v6, v14
	v_addc_co_u32_e32 v29, vcc, 0, v15, vcc
	v_cmp_lt_i64_e32 vcc, v[28:29], v[2:3]
	v_mov_b32_e32 v29, 0
	v_mov_b32_e32 v28, 0
	;; [unrolled: 1-line block ×3, first 2 shown]
	s_and_saveexec_b64 s[22:23], vcc
	s_cbranch_execz .LBB19_13
; %bb.12:                               ;   in Loop: Header=BB19_11 Depth=2
	v_mov_b32_e32 v28, s20
	v_add_co_u32_e32 v30, vcc, s16, v16
	v_addc_co_u32_e32 v31, vcc, v17, v28, vcc
	global_load_sbyte v29, v[30:31], off
	global_load_dword v32, v[0:1], off
	global_load_ubyte v28, v[16:17], off
	s_waitcnt vmcnt(2)
	v_cvt_f32_i32_e32 v30, v29
	s_waitcnt vmcnt(1)
	v_subrev_u32_e32 v29, s17, v32
	v_lshlrev_b32_e32 v29, 1, v29
.LBB19_13:                              ;   in Loop: Header=BB19_11 Depth=2
	s_or_b64 exec, exec, s[22:23]
	v_cvt_i32_f32_e32 v30, v30
	ds_write_b32 v19, v29
	s_waitcnt vmcnt(0)
	ds_write_b8 v21, v28
	ds_write_b8 v21, v30 offset:1
	s_waitcnt lgkmcnt(0)
	; wave barrier
	s_waitcnt lgkmcnt(0)
	s_and_saveexec_b64 s[22:23], s[0:1]
	s_cbranch_execz .LBB19_10
; %bb.14:                               ;   in Loop: Header=BB19_11 Depth=2
	ds_read_b128 v[28:31], v18
	ds_read_b128 v[32:35], v18 offset:16
	s_waitcnt lgkmcnt(1)
	v_ashrrev_i32_e32 v37, 31, v28
	v_add_co_u32_e32 v36, vcc, v8, v28
	v_addc_co_u32_e32 v37, vcc, v9, v37, vcc
	v_ashrrev_i32_e32 v38, 31, v29
	v_add_co_u32_e32 v28, vcc, v8, v29
	v_addc_co_u32_e32 v29, vcc, v9, v38, vcc
	;; [unrolled: 3-line block ×3, first 2 shown]
	global_load_ushort v30, v[36:37], off
	global_load_ushort v40, v[28:29], off
	;; [unrolled: 1-line block ×3, first 2 shown]
	v_ashrrev_i32_e32 v29, 31, v31
	v_add_co_u32_e32 v28, vcc, v8, v31
	v_addc_co_u32_e32 v29, vcc, v9, v29, vcc
	global_load_ushort v31, v[28:29], off
	s_waitcnt lgkmcnt(0)
	v_ashrrev_i32_e32 v29, 31, v32
	v_add_co_u32_e32 v28, vcc, v8, v32
	v_addc_co_u32_e32 v29, vcc, v9, v29, vcc
	v_ashrrev_i32_e32 v36, 31, v33
	global_load_ushort v32, v[28:29], off
	v_add_co_u32_e32 v28, vcc, v8, v33
	v_addc_co_u32_e32 v29, vcc, v9, v36, vcc
	global_load_ushort v33, v[28:29], off
	v_ashrrev_i32_e32 v29, 31, v34
	v_add_co_u32_e32 v28, vcc, v8, v34
	v_addc_co_u32_e32 v29, vcc, v9, v29, vcc
	v_ashrrev_i32_e32 v36, 31, v35
	global_load_ushort v34, v[28:29], off
	v_add_co_u32_e32 v28, vcc, v8, v35
	v_addc_co_u32_e32 v29, vcc, v9, v36, vcc
	global_load_ushort v28, v[28:29], off
	ds_read_u16 v29, v20
	ds_read_i8 v35, v20 offset:3
	ds_read_i8 v36, v20 offset:4
	ds_read_u16 v37, v20 offset:6
	ds_read_i8 v38, v20 offset:9
	ds_read_i8 v39, v20 offset:10
	ds_read_u16 v42, v20 offset:12
	;; [unrolled: 3-line block ×3, first 2 shown]
	ds_read_i8 v46, v20 offset:21
	ds_read_i8 v47, v20 offset:22
	s_waitcnt lgkmcnt(11)
	v_bfe_i32 v48, v29, 0, 8
	v_ashrrev_i16_e32 v29, 8, v29
	v_cvt_f32_i32_sdwa v48, sext(v48) dst_sel:DWORD dst_unused:UNUSED_PAD src0_sel:WORD_0
	v_cvt_f32_i32_sdwa v29, sext(v29) dst_sel:DWORD dst_unused:UNUSED_PAD src0_sel:WORD_0
	s_waitcnt lgkmcnt(10)
	v_cvt_f32_i32_e32 v35, v35
	s_waitcnt lgkmcnt(9)
	v_cvt_f32_i32_e32 v36, v36
	s_waitcnt lgkmcnt(8)
	v_bfe_i32 v49, v37, 0, 8
	v_ashrrev_i16_e32 v37, 8, v37
	v_cvt_f32_i32_sdwa v49, sext(v49) dst_sel:DWORD dst_unused:UNUSED_PAD src0_sel:WORD_0
	v_cvt_f32_i32_sdwa v37, sext(v37) dst_sel:DWORD dst_unused:UNUSED_PAD src0_sel:WORD_0
	s_waitcnt lgkmcnt(7)
	v_cvt_f32_i32_e32 v38, v38
	s_waitcnt lgkmcnt(6)
	v_cvt_f32_i32_e32 v39, v39
	s_waitcnt lgkmcnt(5)
	v_bfe_i32 v50, v42, 0, 8
	v_ashrrev_i16_e32 v42, 8, v42
	s_waitcnt vmcnt(7)
	v_bfe_i32 v51, v30, 0, 8
	v_ashrrev_i16_e32 v30, 8, v30
	v_cvt_f32_i32_sdwa v51, sext(v51) dst_sel:DWORD dst_unused:UNUSED_PAD src0_sel:WORD_0
	s_waitcnt vmcnt(6)
	v_bfe_i32 v52, v40, 0, 8
	v_cvt_f32_i32_sdwa v30, sext(v30) dst_sel:DWORD dst_unused:UNUSED_PAD src0_sel:WORD_0
	v_ashrrev_i16_e32 v40, 8, v40
	v_cvt_f32_i32_sdwa v52, sext(v52) dst_sel:DWORD dst_unused:UNUSED_PAD src0_sel:WORD_0
	s_waitcnt vmcnt(5)
	v_bfe_i32 v53, v41, 0, 8
	v_cvt_f32_i32_sdwa v40, sext(v40) dst_sel:DWORD dst_unused:UNUSED_PAD src0_sel:WORD_0
	v_ashrrev_i16_e32 v41, 8, v41
	v_cvt_f32_i32_sdwa v53, sext(v53) dst_sel:DWORD dst_unused:UNUSED_PAD src0_sel:WORD_0
	v_fmac_f32_e32 v27, v48, v51
	s_waitcnt vmcnt(4)
	v_bfe_i32 v54, v31, 0, 8
	v_cvt_f32_i32_sdwa v41, sext(v41) dst_sel:DWORD dst_unused:UNUSED_PAD src0_sel:WORD_0
	v_fmac_f32_e32 v27, v29, v30
	v_ashrrev_i16_e32 v31, 8, v31
	v_cvt_f32_i32_sdwa v54, sext(v54) dst_sel:DWORD dst_unused:UNUSED_PAD src0_sel:WORD_0
	v_fmac_f32_e32 v27, v35, v52
	v_cvt_f32_i32_sdwa v31, sext(v31) dst_sel:DWORD dst_unused:UNUSED_PAD src0_sel:WORD_0
	v_fmac_f32_e32 v27, v36, v40
	v_fmac_f32_e32 v27, v49, v53
	s_waitcnt vmcnt(3)
	v_bfe_i32 v35, v32, 0, 8
	v_fmac_f32_e32 v27, v37, v41
	v_cvt_f32_i32_sdwa v29, sext(v50) dst_sel:DWORD dst_unused:UNUSED_PAD src0_sel:WORD_0
	v_ashrrev_i16_e32 v32, 8, v32
	v_cvt_f32_i32_sdwa v35, sext(v35) dst_sel:DWORD dst_unused:UNUSED_PAD src0_sel:WORD_0
	v_fmac_f32_e32 v27, v38, v54
	v_cvt_f32_i32_sdwa v30, sext(v42) dst_sel:DWORD dst_unused:UNUSED_PAD src0_sel:WORD_0
	v_cvt_f32_i32_sdwa v32, sext(v32) dst_sel:DWORD dst_unused:UNUSED_PAD src0_sel:WORD_0
	s_waitcnt vmcnt(2)
	v_bfe_i32 v36, v33, 0, 8
	v_fmac_f32_e32 v27, v39, v31
	s_waitcnt lgkmcnt(4)
	v_cvt_f32_i32_e32 v31, v43
	v_ashrrev_i16_e32 v33, 8, v33
	v_cvt_f32_i32_sdwa v36, sext(v36) dst_sel:DWORD dst_unused:UNUSED_PAD src0_sel:WORD_0
	s_waitcnt lgkmcnt(3)
	v_cvt_f32_i32_e32 v37, v44
	v_cvt_f32_i32_sdwa v33, sext(v33) dst_sel:DWORD dst_unused:UNUSED_PAD src0_sel:WORD_0
	v_fmac_f32_e32 v27, v29, v35
	v_fmac_f32_e32 v27, v30, v32
	;; [unrolled: 1-line block ×3, first 2 shown]
	s_waitcnt lgkmcnt(2)
	v_bfe_i32 v29, v45, 0, 8
	s_waitcnt vmcnt(1)
	v_bfe_i32 v32, v34, 0, 8
	v_fmac_f32_e32 v27, v37, v33
	v_ashrrev_i16_e32 v30, 8, v45
	v_cvt_f32_i32_sdwa v29, sext(v29) dst_sel:DWORD dst_unused:UNUSED_PAD src0_sel:WORD_0
	v_ashrrev_i16_e32 v33, 8, v34
	v_cvt_f32_i32_sdwa v32, sext(v32) dst_sel:DWORD dst_unused:UNUSED_PAD src0_sel:WORD_0
	v_cvt_f32_i32_sdwa v30, sext(v30) dst_sel:DWORD dst_unused:UNUSED_PAD src0_sel:WORD_0
	;; [unrolled: 1-line block ×3, first 2 shown]
	s_waitcnt vmcnt(0)
	v_bfe_i32 v34, v28, 0, 8
	s_waitcnt lgkmcnt(1)
	v_cvt_f32_i32_e32 v31, v46
	v_ashrrev_i16_e32 v28, 8, v28
	v_cvt_f32_i32_sdwa v34, sext(v34) dst_sel:DWORD dst_unused:UNUSED_PAD src0_sel:WORD_0
	s_waitcnt lgkmcnt(0)
	v_cvt_f32_i32_e32 v35, v47
	v_cvt_f32_i32_sdwa v28, sext(v28) dst_sel:DWORD dst_unused:UNUSED_PAD src0_sel:WORD_0
	v_fmac_f32_e32 v27, v29, v32
	v_fmac_f32_e32 v27, v30, v33
	;; [unrolled: 1-line block ×4, first 2 shown]
	s_branch .LBB19_10
.LBB19_15:                              ;   in Loop: Header=BB19_8 Depth=1
	s_or_b64 exec, exec, s[18:19]
.LBB19_16:                              ;   in Loop: Header=BB19_8 Depth=1
	s_or_b64 exec, exec, s[14:15]
	s_and_saveexec_b64 s[14:15], s[0:1]
	s_cbranch_execz .LBB19_7
; %bb.17:                               ;   in Loop: Header=BB19_8 Depth=1
	v_mul_f32_e32 v0, s2, v27
	s_mov_b64 s[18:19], -1
	s_and_b64 vcc, exec, s[6:7]
	s_cbranch_vccz .LBB19_23
; %bb.18:                               ;   in Loop: Header=BB19_8 Depth=1
	s_and_b64 vcc, exec, s[4:5]
	s_cbranch_vccz .LBB19_20
; %bb.19:                               ;   in Loop: Header=BB19_8 Depth=1
	global_load_dword v1, v[10:11], off
	s_mov_b64 s[18:19], 0
	s_waitcnt vmcnt(0)
	v_fma_f32 v1, s28, v1, v0
	global_store_dword v[10:11], v1, off
.LBB19_20:                              ;   in Loop: Header=BB19_8 Depth=1
	s_andn2_b64 vcc, exec, s[18:19]
	s_cbranch_vccnz .LBB19_22
; %bb.21:                               ;   in Loop: Header=BB19_8 Depth=1
	global_load_dword v1, v[12:13], off
	s_waitcnt vmcnt(0)
	v_fma_f32 v1, s28, v1, v0
	global_store_dword v[12:13], v1, off
.LBB19_22:                              ;   in Loop: Header=BB19_8 Depth=1
	s_mov_b64 s[18:19], 0
.LBB19_23:                              ;   in Loop: Header=BB19_8 Depth=1
	s_andn2_b64 vcc, exec, s[18:19]
	s_cbranch_vccnz .LBB19_7
; %bb.24:                               ;   in Loop: Header=BB19_8 Depth=1
	s_mov_b64 s[18:19], -1
	s_and_b64 vcc, exec, s[4:5]
	s_cbranch_vccz .LBB19_26
; %bb.25:                               ;   in Loop: Header=BB19_8 Depth=1
	global_store_dword v[10:11], v0, off
	s_mov_b64 s[18:19], 0
.LBB19_26:                              ;   in Loop: Header=BB19_8 Depth=1
	s_andn2_b64 vcc, exec, s[18:19]
	s_cbranch_vccnz .LBB19_7
; %bb.27:                               ;   in Loop: Header=BB19_8 Depth=1
	global_store_dword v[12:13], v0, off
	s_branch .LBB19_7
.LBB19_28:
	s_endpgm
	.section	.rodata,"a",@progbits
	.p2align	6, 0x0
	.amdhsa_kernel _ZN9rocsparseL29bsrmmnn_small_blockdim_kernelILj64ELj8ELj2EliaaffEEv20rocsparse_direction_T3_S2_llNS_24const_host_device_scalarIT7_EEPKT2_PKS2_PKT4_PKT5_llS5_PT6_ll16rocsparse_order_21rocsparse_index_base_b
		.amdhsa_group_segment_fixed_size 448
		.amdhsa_private_segment_fixed_size 0
		.amdhsa_kernarg_size 392
		.amdhsa_user_sgpr_count 6
		.amdhsa_user_sgpr_private_segment_buffer 1
		.amdhsa_user_sgpr_dispatch_ptr 0
		.amdhsa_user_sgpr_queue_ptr 0
		.amdhsa_user_sgpr_kernarg_segment_ptr 1
		.amdhsa_user_sgpr_dispatch_id 0
		.amdhsa_user_sgpr_flat_scratch_init 0
		.amdhsa_user_sgpr_kernarg_preload_length 0
		.amdhsa_user_sgpr_kernarg_preload_offset 0
		.amdhsa_user_sgpr_private_segment_size 0
		.amdhsa_uses_dynamic_stack 0
		.amdhsa_system_sgpr_private_segment_wavefront_offset 0
		.amdhsa_system_sgpr_workgroup_id_x 1
		.amdhsa_system_sgpr_workgroup_id_y 1
		.amdhsa_system_sgpr_workgroup_id_z 0
		.amdhsa_system_sgpr_workgroup_info 0
		.amdhsa_system_vgpr_workitem_id 0
		.amdhsa_next_free_vgpr 55
		.amdhsa_next_free_sgpr 30
		.amdhsa_accum_offset 56
		.amdhsa_reserve_vcc 1
		.amdhsa_reserve_flat_scratch 0
		.amdhsa_float_round_mode_32 0
		.amdhsa_float_round_mode_16_64 0
		.amdhsa_float_denorm_mode_32 3
		.amdhsa_float_denorm_mode_16_64 3
		.amdhsa_dx10_clamp 1
		.amdhsa_ieee_mode 1
		.amdhsa_fp16_overflow 0
		.amdhsa_tg_split 0
		.amdhsa_exception_fp_ieee_invalid_op 0
		.amdhsa_exception_fp_denorm_src 0
		.amdhsa_exception_fp_ieee_div_zero 0
		.amdhsa_exception_fp_ieee_overflow 0
		.amdhsa_exception_fp_ieee_underflow 0
		.amdhsa_exception_fp_ieee_inexact 0
		.amdhsa_exception_int_div_zero 0
	.end_amdhsa_kernel
	.section	.text._ZN9rocsparseL29bsrmmnn_small_blockdim_kernelILj64ELj8ELj2EliaaffEEv20rocsparse_direction_T3_S2_llNS_24const_host_device_scalarIT7_EEPKT2_PKS2_PKT4_PKT5_llS5_PT6_ll16rocsparse_order_21rocsparse_index_base_b,"axG",@progbits,_ZN9rocsparseL29bsrmmnn_small_blockdim_kernelILj64ELj8ELj2EliaaffEEv20rocsparse_direction_T3_S2_llNS_24const_host_device_scalarIT7_EEPKT2_PKS2_PKT4_PKT5_llS5_PT6_ll16rocsparse_order_21rocsparse_index_base_b,comdat
.Lfunc_end19:
	.size	_ZN9rocsparseL29bsrmmnn_small_blockdim_kernelILj64ELj8ELj2EliaaffEEv20rocsparse_direction_T3_S2_llNS_24const_host_device_scalarIT7_EEPKT2_PKS2_PKT4_PKT5_llS5_PT6_ll16rocsparse_order_21rocsparse_index_base_b, .Lfunc_end19-_ZN9rocsparseL29bsrmmnn_small_blockdim_kernelILj64ELj8ELj2EliaaffEEv20rocsparse_direction_T3_S2_llNS_24const_host_device_scalarIT7_EEPKT2_PKS2_PKT4_PKT5_llS5_PT6_ll16rocsparse_order_21rocsparse_index_base_b
                                        ; -- End function
	.section	.AMDGPU.csdata,"",@progbits
; Kernel info:
; codeLenInByte = 1844
; NumSgprs: 34
; NumVgprs: 55
; NumAgprs: 0
; TotalNumVgprs: 55
; ScratchSize: 0
; MemoryBound: 0
; FloatMode: 240
; IeeeMode: 1
; LDSByteSize: 448 bytes/workgroup (compile time only)
; SGPRBlocks: 4
; VGPRBlocks: 6
; NumSGPRsForWavesPerEU: 34
; NumVGPRsForWavesPerEU: 55
; AccumOffset: 56
; Occupancy: 8
; WaveLimiterHint : 0
; COMPUTE_PGM_RSRC2:SCRATCH_EN: 0
; COMPUTE_PGM_RSRC2:USER_SGPR: 6
; COMPUTE_PGM_RSRC2:TRAP_HANDLER: 0
; COMPUTE_PGM_RSRC2:TGID_X_EN: 1
; COMPUTE_PGM_RSRC2:TGID_Y_EN: 1
; COMPUTE_PGM_RSRC2:TGID_Z_EN: 0
; COMPUTE_PGM_RSRC2:TIDIG_COMP_CNT: 0
; COMPUTE_PGM_RSRC3_GFX90A:ACCUM_OFFSET: 13
; COMPUTE_PGM_RSRC3_GFX90A:TG_SPLIT: 0
	.section	.text._ZN9rocsparseL29bsrmmnn_small_blockdim_kernelILj64ELj8ELj2EllaaffEEv20rocsparse_direction_T3_S2_llNS_24const_host_device_scalarIT7_EEPKT2_PKS2_PKT4_PKT5_llS5_PT6_ll16rocsparse_order_21rocsparse_index_base_b,"axG",@progbits,_ZN9rocsparseL29bsrmmnn_small_blockdim_kernelILj64ELj8ELj2EllaaffEEv20rocsparse_direction_T3_S2_llNS_24const_host_device_scalarIT7_EEPKT2_PKS2_PKT4_PKT5_llS5_PT6_ll16rocsparse_order_21rocsparse_index_base_b,comdat
	.globl	_ZN9rocsparseL29bsrmmnn_small_blockdim_kernelILj64ELj8ELj2EllaaffEEv20rocsparse_direction_T3_S2_llNS_24const_host_device_scalarIT7_EEPKT2_PKS2_PKT4_PKT5_llS5_PT6_ll16rocsparse_order_21rocsparse_index_base_b ; -- Begin function _ZN9rocsparseL29bsrmmnn_small_blockdim_kernelILj64ELj8ELj2EllaaffEEv20rocsparse_direction_T3_S2_llNS_24const_host_device_scalarIT7_EEPKT2_PKS2_PKT4_PKT5_llS5_PT6_ll16rocsparse_order_21rocsparse_index_base_b
	.p2align	8
	.type	_ZN9rocsparseL29bsrmmnn_small_blockdim_kernelILj64ELj8ELj2EllaaffEEv20rocsparse_direction_T3_S2_llNS_24const_host_device_scalarIT7_EEPKT2_PKS2_PKT4_PKT5_llS5_PT6_ll16rocsparse_order_21rocsparse_index_base_b,@function
_ZN9rocsparseL29bsrmmnn_small_blockdim_kernelILj64ELj8ELj2EllaaffEEv20rocsparse_direction_T3_S2_llNS_24const_host_device_scalarIT7_EEPKT2_PKS2_PKT4_PKT5_llS5_PT6_ll16rocsparse_order_21rocsparse_index_base_b: ; @_ZN9rocsparseL29bsrmmnn_small_blockdim_kernelILj64ELj8ELj2EllaaffEEv20rocsparse_direction_T3_S2_llNS_24const_host_device_scalarIT7_EEPKT2_PKS2_PKT4_PKT5_llS5_PT6_ll16rocsparse_order_21rocsparse_index_base_b
; %bb.0:
	s_load_dwordx4 s[20:23], s[4:5], 0x80
	s_load_dwordx2 s[2:3], s[4:5], 0x28
	s_load_dwordx2 s[28:29], s[4:5], 0x60
	s_waitcnt lgkmcnt(0)
	s_bitcmp1_b32 s22, 0
	s_cselect_b64 s[8:9], -1, 0
	s_xor_b64 s[0:1], s[8:9], -1
	s_and_b64 vcc, exec, s[8:9]
	s_cbranch_vccnz .LBB20_2
; %bb.1:
	s_load_dword s2, s[2:3], 0x0
.LBB20_2:
	s_andn2_b64 vcc, exec, s[0:1]
	s_cbranch_vccnz .LBB20_4
; %bb.3:
	s_load_dword s28, s[28:29], 0x0
.LBB20_4:
	s_waitcnt lgkmcnt(0)
	v_cmp_eq_f32_e64 s[0:1], s2, 0
	v_cmp_eq_f32_e64 s[8:9], s28, 1.0
	s_and_b64 s[0:1], s[0:1], s[8:9]
	s_and_b64 vcc, exec, s[0:1]
	s_cbranch_vccnz .LBB20_28
; %bb.5:
	s_load_dword s0, s[4:5], 0x90
	s_load_dwordx4 s[16:19], s[4:5], 0x8
	s_add_u32 s1, s4, 0x90
	s_addc_u32 s3, s5, 0
	v_mov_b32_e32 v5, 0
	s_waitcnt lgkmcnt(0)
	s_cmp_lt_u32 s6, s0
	s_cselect_b32 s8, 12, 18
	s_add_u32 s8, s1, s8
	s_addc_u32 s9, s3, 0
	global_load_ushort v2, v5, s[8:9]
	s_mov_b32 s3, 0
	s_waitcnt vmcnt(0)
	v_mul_lo_u32 v1, s6, v2
	v_add_u32_e32 v1, v1, v0
	v_lshrrev_b32_e32 v4, 4, v1
	v_cmp_gt_i64_e32 vcc, s[16:17], v[4:5]
	s_and_saveexec_b64 s[8:9], vcc
	s_cbranch_execz .LBB20_28
; %bb.6:
	s_load_dwordx8 s[8:15], s[4:5], 0x30
	s_load_dwordx4 s[24:27], s[4:5], 0x68
	s_load_dwordx2 s[30:31], s[4:5], 0x50
	v_mul_lo_u32 v2, s0, v2
	s_load_dword s0, s[4:5], 0x0
	v_and_b32_e32 v6, 7, v1
	v_lshrrev_b32_e32 v20, 4, v2
	v_lshl_or_b32 v2, s7, 3, v6
	v_mov_b32_e32 v3, v5
	v_lshrrev_b32_e32 v7, 3, v1
	v_bfe_u32 v12, v1, 3, 1
	v_lshrrev_b32_e32 v8, 3, v0
	v_lshlrev_b64 v[0:1], 2, v[2:3]
	s_waitcnt lgkmcnt(0)
	v_mov_b32_e32 v14, s25
	v_add_co_u32_e32 v10, vcc, s24, v0
	s_cmp_lg_u32 s20, 1
	v_mul_u32_u24_e32 v0, 24, v8
	v_addc_co_u32_e32 v11, vcc, v14, v1, vcc
	s_cselect_b64 s[4:5], -1, 0
	s_cmp_eq_u32 s0, 0
	v_or_b32_e32 v23, 0x200, v0
	v_cmp_gt_i64_e64 s[0:1], s[18:19], v[2:3]
	v_mad_u64_u32 v[0:1], s[18:19], v7, s26, 0
	v_lshlrev_b32_e32 v21, 6, v8
	v_mov_b32_e32 v8, v1
	v_mad_u64_u32 v[8:9], s[18:19], v7, s27, v[8:9]
	v_mov_b32_e32 v1, v8
	v_lshlrev_b64 v[0:1], 2, v[0:1]
	v_add_co_u32_e32 v8, vcc, v10, v0
	v_addc_co_u32_e32 v9, vcc, v11, v1, vcc
	v_mad_u64_u32 v[0:1], s[18:19], v2, s26, 0
	v_mov_b32_e32 v10, v1
	v_mad_u64_u32 v[10:11], s[18:19], v2, s27, v[10:11]
	v_lshlrev_b32_e32 v3, 2, v7
	v_mov_b32_e32 v1, v10
	v_add_co_u32_e32 v3, vcc, s24, v3
	v_addc_co_u32_e32 v7, vcc, 0, v14, vcc
	v_lshlrev_b64 v[0:1], 2, v[0:1]
	s_cselect_b64 s[18:19], -1, 0
	v_mov_b32_e32 v13, v5
	v_add_co_u32_e32 v10, vcc, v3, v0
	v_cndmask_b32_e64 v0, 0, 1, s[18:19]
	v_addc_co_u32_e32 v11, vcc, v7, v1, vcc
	v_lshlrev_b64 v[0:1], v0, v[12:13]
	v_pk_mov_b32 v[12:13], s[14:15], s[14:15] op_sel:[0,1]
	v_mad_u64_u32 v[12:13], s[14:15], v2, s30, v[12:13]
	v_mov_b32_e32 v14, v13
	v_mad_u64_u32 v[2:3], s[14:15], v2, s31, v[14:15]
	v_subrev_co_u32_e32 v13, vcc, s21, v6
	s_and_b64 s[18:19], s[18:19], exec
	v_mov_b32_e32 v7, v2
	v_subb_co_u32_e64 v25, s[14:15], 0, 0, vcc
	v_mov_b32_e32 v2, s13
	v_add_co_u32_e32 v26, vcc, s12, v0
	s_mov_b32 s22, s21
	v_lshl_or_b32 v22, v6, 3, v21
	v_mad_u32_u24 v24, v6, 3, v23
	v_cmp_neq_f32_e64 s[6:7], s28, 0
	s_cselect_b32 s23, 1, 2
	s_mov_b32 s24, s3
	v_addc_co_u32_e32 v27, vcc, v2, v1, vcc
	s_mov_b64 s[12:13], 0
	v_mov_b32_e32 v28, s9
	s_branch .LBB20_8
.LBB20_7:                               ;   in Loop: Header=BB20_8 Depth=1
	s_or_b64 exec, exec, s[14:15]
	v_add_co_u32_e32 v4, vcc, v4, v20
	v_addc_co_u32_e32 v5, vcc, 0, v5, vcc
	v_cmp_le_i64_e32 vcc, s[16:17], v[4:5]
	s_or_b64 s[12:13], vcc, s[12:13]
	s_andn2_b64 exec, exec, s[12:13]
	s_cbranch_execz .LBB20_28
.LBB20_8:                               ; =>This Loop Header: Depth=1
                                        ;     Child Loop BB20_11 Depth 2
	v_lshlrev_b64 v[0:1], 3, v[4:5]
	v_add_co_u32_e32 v0, vcc, s8, v0
	v_addc_co_u32_e32 v1, vcc, v28, v1, vcc
	global_load_dwordx4 v[0:3], v[0:1], off
	v_mov_b32_e32 v29, 0
	s_waitcnt vmcnt(0)
	v_cmp_lt_i64_e32 vcc, v[0:1], v[2:3]
	s_and_saveexec_b64 s[14:15], vcc
	s_cbranch_execz .LBB20_16
; %bb.9:                                ;   in Loop: Header=BB20_8 Depth=1
	v_mov_b32_e32 v15, s3
	v_subrev_co_u32_e32 v2, vcc, s22, v2
	v_subb_co_u32_e32 v3, vcc, v3, v15, vcc
	v_subrev_co_u32_e32 v14, vcc, s22, v0
	v_subb_co_u32_e32 v15, vcc, v1, v15, vcc
	v_add_co_u32_e32 v16, vcc, v13, v0
	v_addc_co_u32_e32 v17, vcc, v25, v1, vcc
	v_lshlrev_b64 v[0:1], 3, v[16:17]
	v_mov_b32_e32 v18, s11
	v_add_co_u32_e32 v0, vcc, s10, v0
	v_addc_co_u32_e32 v1, vcc, v18, v1, vcc
	v_lshlrev_b64 v[16:17], 2, v[16:17]
	v_add_co_u32_e32 v16, vcc, v26, v16
	v_addc_co_u32_e32 v17, vcc, v27, v17, vcc
	s_mov_b64 s[18:19], 0
	v_mov_b32_e32 v29, 0
	s_branch .LBB20_11
.LBB20_10:                              ;   in Loop: Header=BB20_11 Depth=2
	s_or_b64 exec, exec, s[20:21]
	v_add_co_u32_e32 v14, vcc, 8, v14
	v_addc_co_u32_e32 v15, vcc, 0, v15, vcc
	v_add_co_u32_e32 v0, vcc, 64, v0
	v_addc_co_u32_e32 v1, vcc, 0, v1, vcc
	v_cmp_ge_i64_e32 vcc, v[14:15], v[2:3]
	s_or_b64 s[18:19], vcc, s[18:19]
	v_add_co_u32_e32 v16, vcc, 32, v16
	v_addc_co_u32_e32 v17, vcc, 0, v17, vcc
	s_andn2_b64 exec, exec, s[18:19]
	s_cbranch_execz .LBB20_15
.LBB20_11:                              ;   Parent Loop BB20_8 Depth=1
                                        ; =>  This Inner Loop Header: Depth=2
	v_add_co_u32_e32 v18, vcc, v6, v14
	v_addc_co_u32_e32 v19, vcc, 0, v15, vcc
	v_cmp_lt_i64_e32 vcc, v[18:19], v[2:3]
	v_pk_mov_b32 v[18:19], 0, 0
	v_mov_b32_e32 v30, 0
	v_mov_b32_e32 v31, 0
	s_and_saveexec_b64 s[20:21], vcc
	s_cbranch_execz .LBB20_13
; %bb.12:                               ;   in Loop: Header=BB20_11 Depth=2
	v_mov_b32_e32 v19, s24
	v_add_co_u32_e32 v18, vcc, s23, v16
	v_addc_co_u32_e32 v19, vcc, v17, v19, vcc
	global_load_sbyte v31, v[18:19], off
	global_load_dwordx2 v[32:33], v[0:1], off
	global_load_ubyte v30, v[16:17], off
	v_mov_b32_e32 v19, s3
	s_waitcnt vmcnt(2)
	v_cvt_f32_i32_e32 v31, v31
	s_waitcnt vmcnt(1)
	v_subrev_co_u32_e32 v18, vcc, s22, v32
	v_subb_co_u32_e32 v19, vcc, v33, v19, vcc
	v_lshlrev_b64 v[18:19], 1, v[18:19]
.LBB20_13:                              ;   in Loop: Header=BB20_11 Depth=2
	s_or_b64 exec, exec, s[20:21]
	v_cvt_i32_f32_e32 v31, v31
	ds_write_b64 v22, v[18:19]
	s_waitcnt vmcnt(0)
	ds_write_b8 v24, v30
	ds_write_b8 v24, v31 offset:1
	s_waitcnt lgkmcnt(0)
	; wave barrier
	s_waitcnt lgkmcnt(0)
	s_and_saveexec_b64 s[20:21], s[0:1]
	s_cbranch_execz .LBB20_10
; %bb.14:                               ;   in Loop: Header=BB20_11 Depth=2
	ds_read_b128 v[30:33], v21
	ds_read_b128 v[34:37], v21 offset:16
	ds_read_b128 v[38:41], v21 offset:32
	ds_read_b128 v[42:45], v21 offset:48
	s_waitcnt lgkmcnt(3)
	v_add_co_u32_e32 v18, vcc, v12, v30
	v_addc_co_u32_e32 v19, vcc, v7, v31, vcc
	v_add_co_u32_e32 v30, vcc, v12, v32
	v_addc_co_u32_e32 v31, vcc, v7, v33, vcc
	s_waitcnt lgkmcnt(2)
	v_add_co_u32_e32 v32, vcc, v12, v34
	v_addc_co_u32_e32 v33, vcc, v7, v35, vcc
	v_add_co_u32_e32 v34, vcc, v12, v36
	v_addc_co_u32_e32 v35, vcc, v7, v37, vcc
	global_load_ushort v36, v[18:19], off
	global_load_ushort v37, v[30:31], off
	;; [unrolled: 1-line block ×4, first 2 shown]
	s_waitcnt lgkmcnt(1)
	v_add_co_u32_e32 v18, vcc, v12, v38
	v_addc_co_u32_e32 v19, vcc, v7, v39, vcc
	global_load_ushort v30, v[18:19], off
	v_add_co_u32_e32 v18, vcc, v12, v40
	v_addc_co_u32_e32 v19, vcc, v7, v41, vcc
	global_load_ushort v31, v[18:19], off
	s_waitcnt lgkmcnt(0)
	v_add_co_u32_e32 v18, vcc, v12, v42
	v_addc_co_u32_e32 v19, vcc, v7, v43, vcc
	global_load_ushort v32, v[18:19], off
	v_add_co_u32_e32 v18, vcc, v12, v44
	v_addc_co_u32_e32 v19, vcc, v7, v45, vcc
	global_load_ushort v18, v[18:19], off
	ds_read_u16 v19, v23
	ds_read_i8 v33, v23 offset:3
	ds_read_i8 v34, v23 offset:4
	ds_read_u16 v35, v23 offset:6
	ds_read_i8 v38, v23 offset:9
	ds_read_i8 v39, v23 offset:10
	ds_read_u16 v40, v23 offset:12
	;; [unrolled: 3-line block ×3, first 2 shown]
	ds_read_i8 v44, v23 offset:21
	ds_read_i8 v45, v23 offset:22
	s_waitcnt lgkmcnt(11)
	v_bfe_i32 v48, v19, 0, 8
	v_ashrrev_i16_e32 v19, 8, v19
	v_cvt_f32_i32_sdwa v48, sext(v48) dst_sel:DWORD dst_unused:UNUSED_PAD src0_sel:WORD_0
	v_cvt_f32_i32_sdwa v19, sext(v19) dst_sel:DWORD dst_unused:UNUSED_PAD src0_sel:WORD_0
	s_waitcnt lgkmcnt(10)
	v_cvt_f32_i32_e32 v33, v33
	s_waitcnt lgkmcnt(9)
	v_cvt_f32_i32_e32 v34, v34
	s_waitcnt lgkmcnt(8)
	v_bfe_i32 v49, v35, 0, 8
	v_ashrrev_i16_e32 v35, 8, v35
	v_cvt_f32_i32_sdwa v49, sext(v49) dst_sel:DWORD dst_unused:UNUSED_PAD src0_sel:WORD_0
	v_cvt_f32_i32_sdwa v35, sext(v35) dst_sel:DWORD dst_unused:UNUSED_PAD src0_sel:WORD_0
	s_waitcnt lgkmcnt(7)
	v_cvt_f32_i32_e32 v38, v38
	s_waitcnt lgkmcnt(6)
	v_cvt_f32_i32_e32 v39, v39
	s_waitcnt lgkmcnt(5)
	v_bfe_i32 v50, v40, 0, 8
	v_ashrrev_i16_e32 v40, 8, v40
	v_cvt_f32_i32_sdwa v50, sext(v50) dst_sel:DWORD dst_unused:UNUSED_PAD src0_sel:WORD_0
	v_cvt_f32_i32_sdwa v40, sext(v40) dst_sel:DWORD dst_unused:UNUSED_PAD src0_sel:WORD_0
	s_waitcnt vmcnt(7)
	v_bfe_i32 v51, v36, 0, 8
	v_ashrrev_i16_e32 v36, 8, v36
	v_cvt_f32_i32_sdwa v51, sext(v51) dst_sel:DWORD dst_unused:UNUSED_PAD src0_sel:WORD_0
	s_waitcnt vmcnt(6)
	v_bfe_i32 v52, v37, 0, 8
	v_cvt_f32_i32_sdwa v36, sext(v36) dst_sel:DWORD dst_unused:UNUSED_PAD src0_sel:WORD_0
	v_ashrrev_i16_e32 v37, 8, v37
	v_cvt_f32_i32_sdwa v52, sext(v52) dst_sel:DWORD dst_unused:UNUSED_PAD src0_sel:WORD_0
	s_waitcnt vmcnt(5)
	v_bfe_i32 v53, v46, 0, 8
	v_cvt_f32_i32_sdwa v37, sext(v37) dst_sel:DWORD dst_unused:UNUSED_PAD src0_sel:WORD_0
	v_ashrrev_i16_e32 v46, 8, v46
	v_cvt_f32_i32_sdwa v53, sext(v53) dst_sel:DWORD dst_unused:UNUSED_PAD src0_sel:WORD_0
	v_fmac_f32_e32 v29, v48, v51
	s_waitcnt vmcnt(4)
	v_bfe_i32 v54, v47, 0, 8
	v_cvt_f32_i32_sdwa v46, sext(v46) dst_sel:DWORD dst_unused:UNUSED_PAD src0_sel:WORD_0
	v_fmac_f32_e32 v29, v19, v36
	v_ashrrev_i16_e32 v47, 8, v47
	v_cvt_f32_i32_sdwa v54, sext(v54) dst_sel:DWORD dst_unused:UNUSED_PAD src0_sel:WORD_0
	v_fmac_f32_e32 v29, v33, v52
	s_waitcnt vmcnt(3)
	v_bfe_i32 v55, v30, 0, 8
	v_cvt_f32_i32_sdwa v47, sext(v47) dst_sel:DWORD dst_unused:UNUSED_PAD src0_sel:WORD_0
	v_fmac_f32_e32 v29, v34, v37
	v_ashrrev_i16_e32 v30, 8, v30
	v_cvt_f32_i32_sdwa v55, sext(v55) dst_sel:DWORD dst_unused:UNUSED_PAD src0_sel:WORD_0
	v_fmac_f32_e32 v29, v49, v53
	v_fmac_f32_e32 v29, v35, v46
	v_cvt_f32_i32_sdwa v19, sext(v30) dst_sel:DWORD dst_unused:UNUSED_PAD src0_sel:WORD_0
	s_waitcnt vmcnt(2)
	v_bfe_i32 v33, v31, 0, 8
	v_fmac_f32_e32 v29, v38, v54
	s_waitcnt lgkmcnt(4)
	v_cvt_f32_i32_e32 v30, v41
	v_ashrrev_i16_e32 v31, 8, v31
	v_cvt_f32_i32_sdwa v33, sext(v33) dst_sel:DWORD dst_unused:UNUSED_PAD src0_sel:WORD_0
	v_fmac_f32_e32 v29, v39, v47
	s_waitcnt lgkmcnt(3)
	v_cvt_f32_i32_e32 v34, v42
	v_cvt_f32_i32_sdwa v31, sext(v31) dst_sel:DWORD dst_unused:UNUSED_PAD src0_sel:WORD_0
	v_fmac_f32_e32 v29, v50, v55
	v_fmac_f32_e32 v29, v40, v19
	;; [unrolled: 1-line block ×4, first 2 shown]
	s_waitcnt lgkmcnt(2)
	v_bfe_i32 v19, v43, 0, 8
	s_waitcnt vmcnt(1)
	v_bfe_i32 v31, v32, 0, 8
	v_ashrrev_i16_e32 v30, 8, v43
	v_cvt_f32_i32_sdwa v19, sext(v19) dst_sel:DWORD dst_unused:UNUSED_PAD src0_sel:WORD_0
	v_ashrrev_i16_e32 v32, 8, v32
	v_cvt_f32_i32_sdwa v31, sext(v31) dst_sel:DWORD dst_unused:UNUSED_PAD src0_sel:WORD_0
	v_cvt_f32_i32_sdwa v30, sext(v30) dst_sel:DWORD dst_unused:UNUSED_PAD src0_sel:WORD_0
	v_cvt_f32_i32_sdwa v32, sext(v32) dst_sel:DWORD dst_unused:UNUSED_PAD src0_sel:WORD_0
	s_waitcnt vmcnt(0)
	v_bfe_i32 v34, v18, 0, 8
	s_waitcnt lgkmcnt(1)
	v_cvt_f32_i32_e32 v33, v44
	v_ashrrev_i16_e32 v18, 8, v18
	v_cvt_f32_i32_sdwa v34, sext(v34) dst_sel:DWORD dst_unused:UNUSED_PAD src0_sel:WORD_0
	s_waitcnt lgkmcnt(0)
	v_cvt_f32_i32_e32 v35, v45
	v_cvt_f32_i32_sdwa v18, sext(v18) dst_sel:DWORD dst_unused:UNUSED_PAD src0_sel:WORD_0
	v_fmac_f32_e32 v29, v19, v31
	v_fmac_f32_e32 v29, v30, v32
	;; [unrolled: 1-line block ×4, first 2 shown]
	s_branch .LBB20_10
.LBB20_15:                              ;   in Loop: Header=BB20_8 Depth=1
	s_or_b64 exec, exec, s[18:19]
.LBB20_16:                              ;   in Loop: Header=BB20_8 Depth=1
	s_or_b64 exec, exec, s[14:15]
	s_and_saveexec_b64 s[14:15], s[0:1]
	s_cbranch_execz .LBB20_7
; %bb.17:                               ;   in Loop: Header=BB20_8 Depth=1
	v_mul_f32_e32 v0, s2, v29
	s_mov_b64 s[18:19], -1
	s_and_b64 vcc, exec, s[6:7]
	s_cbranch_vccz .LBB20_23
; %bb.18:                               ;   in Loop: Header=BB20_8 Depth=1
	s_and_b64 vcc, exec, s[4:5]
	s_cbranch_vccz .LBB20_20
; %bb.19:                               ;   in Loop: Header=BB20_8 Depth=1
	global_load_dword v1, v[8:9], off
	s_mov_b64 s[18:19], 0
	s_waitcnt vmcnt(0)
	v_fma_f32 v1, s28, v1, v0
	global_store_dword v[8:9], v1, off
.LBB20_20:                              ;   in Loop: Header=BB20_8 Depth=1
	s_andn2_b64 vcc, exec, s[18:19]
	s_cbranch_vccnz .LBB20_22
; %bb.21:                               ;   in Loop: Header=BB20_8 Depth=1
	global_load_dword v1, v[10:11], off
	s_waitcnt vmcnt(0)
	v_fma_f32 v1, s28, v1, v0
	global_store_dword v[10:11], v1, off
.LBB20_22:                              ;   in Loop: Header=BB20_8 Depth=1
	s_mov_b64 s[18:19], 0
.LBB20_23:                              ;   in Loop: Header=BB20_8 Depth=1
	s_andn2_b64 vcc, exec, s[18:19]
	s_cbranch_vccnz .LBB20_7
; %bb.24:                               ;   in Loop: Header=BB20_8 Depth=1
	s_mov_b64 s[18:19], -1
	s_and_b64 vcc, exec, s[4:5]
	s_cbranch_vccz .LBB20_26
; %bb.25:                               ;   in Loop: Header=BB20_8 Depth=1
	global_store_dword v[8:9], v0, off
	s_mov_b64 s[18:19], 0
.LBB20_26:                              ;   in Loop: Header=BB20_8 Depth=1
	s_andn2_b64 vcc, exec, s[18:19]
	s_cbranch_vccnz .LBB20_7
; %bb.27:                               ;   in Loop: Header=BB20_8 Depth=1
	global_store_dword v[10:11], v0, off
	s_branch .LBB20_7
.LBB20_28:
	s_endpgm
	.section	.rodata,"a",@progbits
	.p2align	6, 0x0
	.amdhsa_kernel _ZN9rocsparseL29bsrmmnn_small_blockdim_kernelILj64ELj8ELj2EllaaffEEv20rocsparse_direction_T3_S2_llNS_24const_host_device_scalarIT7_EEPKT2_PKS2_PKT4_PKT5_llS5_PT6_ll16rocsparse_order_21rocsparse_index_base_b
		.amdhsa_group_segment_fixed_size 704
		.amdhsa_private_segment_fixed_size 0
		.amdhsa_kernarg_size 400
		.amdhsa_user_sgpr_count 6
		.amdhsa_user_sgpr_private_segment_buffer 1
		.amdhsa_user_sgpr_dispatch_ptr 0
		.amdhsa_user_sgpr_queue_ptr 0
		.amdhsa_user_sgpr_kernarg_segment_ptr 1
		.amdhsa_user_sgpr_dispatch_id 0
		.amdhsa_user_sgpr_flat_scratch_init 0
		.amdhsa_user_sgpr_kernarg_preload_length 0
		.amdhsa_user_sgpr_kernarg_preload_offset 0
		.amdhsa_user_sgpr_private_segment_size 0
		.amdhsa_uses_dynamic_stack 0
		.amdhsa_system_sgpr_private_segment_wavefront_offset 0
		.amdhsa_system_sgpr_workgroup_id_x 1
		.amdhsa_system_sgpr_workgroup_id_y 1
		.amdhsa_system_sgpr_workgroup_id_z 0
		.amdhsa_system_sgpr_workgroup_info 0
		.amdhsa_system_vgpr_workitem_id 0
		.amdhsa_next_free_vgpr 56
		.amdhsa_next_free_sgpr 32
		.amdhsa_accum_offset 56
		.amdhsa_reserve_vcc 1
		.amdhsa_reserve_flat_scratch 0
		.amdhsa_float_round_mode_32 0
		.amdhsa_float_round_mode_16_64 0
		.amdhsa_float_denorm_mode_32 3
		.amdhsa_float_denorm_mode_16_64 3
		.amdhsa_dx10_clamp 1
		.amdhsa_ieee_mode 1
		.amdhsa_fp16_overflow 0
		.amdhsa_tg_split 0
		.amdhsa_exception_fp_ieee_invalid_op 0
		.amdhsa_exception_fp_denorm_src 0
		.amdhsa_exception_fp_ieee_div_zero 0
		.amdhsa_exception_fp_ieee_overflow 0
		.amdhsa_exception_fp_ieee_underflow 0
		.amdhsa_exception_fp_ieee_inexact 0
		.amdhsa_exception_int_div_zero 0
	.end_amdhsa_kernel
	.section	.text._ZN9rocsparseL29bsrmmnn_small_blockdim_kernelILj64ELj8ELj2EllaaffEEv20rocsparse_direction_T3_S2_llNS_24const_host_device_scalarIT7_EEPKT2_PKS2_PKT4_PKT5_llS5_PT6_ll16rocsparse_order_21rocsparse_index_base_b,"axG",@progbits,_ZN9rocsparseL29bsrmmnn_small_blockdim_kernelILj64ELj8ELj2EllaaffEEv20rocsparse_direction_T3_S2_llNS_24const_host_device_scalarIT7_EEPKT2_PKS2_PKT4_PKT5_llS5_PT6_ll16rocsparse_order_21rocsparse_index_base_b,comdat
.Lfunc_end20:
	.size	_ZN9rocsparseL29bsrmmnn_small_blockdim_kernelILj64ELj8ELj2EllaaffEEv20rocsparse_direction_T3_S2_llNS_24const_host_device_scalarIT7_EEPKT2_PKS2_PKT4_PKT5_llS5_PT6_ll16rocsparse_order_21rocsparse_index_base_b, .Lfunc_end20-_ZN9rocsparseL29bsrmmnn_small_blockdim_kernelILj64ELj8ELj2EllaaffEEv20rocsparse_direction_T3_S2_llNS_24const_host_device_scalarIT7_EEPKT2_PKS2_PKT4_PKT5_llS5_PT6_ll16rocsparse_order_21rocsparse_index_base_b
                                        ; -- End function
	.section	.AMDGPU.csdata,"",@progbits
; Kernel info:
; codeLenInByte = 1864
; NumSgprs: 36
; NumVgprs: 56
; NumAgprs: 0
; TotalNumVgprs: 56
; ScratchSize: 0
; MemoryBound: 0
; FloatMode: 240
; IeeeMode: 1
; LDSByteSize: 704 bytes/workgroup (compile time only)
; SGPRBlocks: 4
; VGPRBlocks: 6
; NumSGPRsForWavesPerEU: 36
; NumVGPRsForWavesPerEU: 56
; AccumOffset: 56
; Occupancy: 8
; WaveLimiterHint : 1
; COMPUTE_PGM_RSRC2:SCRATCH_EN: 0
; COMPUTE_PGM_RSRC2:USER_SGPR: 6
; COMPUTE_PGM_RSRC2:TRAP_HANDLER: 0
; COMPUTE_PGM_RSRC2:TGID_X_EN: 1
; COMPUTE_PGM_RSRC2:TGID_Y_EN: 1
; COMPUTE_PGM_RSRC2:TGID_Z_EN: 0
; COMPUTE_PGM_RSRC2:TIDIG_COMP_CNT: 0
; COMPUTE_PGM_RSRC3_GFX90A:ACCUM_OFFSET: 13
; COMPUTE_PGM_RSRC3_GFX90A:TG_SPLIT: 0
	.section	.text._ZN9rocsparseL29bsrmmnt_small_blockdim_kernelILj64ELj8ELj2EiiffffEEv20rocsparse_direction_T3_S2_llNS_24const_host_device_scalarIT7_EEPKT2_PKS2_PKT4_PKT5_llS5_PT6_ll16rocsparse_order_21rocsparse_index_base_b,"axG",@progbits,_ZN9rocsparseL29bsrmmnt_small_blockdim_kernelILj64ELj8ELj2EiiffffEEv20rocsparse_direction_T3_S2_llNS_24const_host_device_scalarIT7_EEPKT2_PKS2_PKT4_PKT5_llS5_PT6_ll16rocsparse_order_21rocsparse_index_base_b,comdat
	.globl	_ZN9rocsparseL29bsrmmnt_small_blockdim_kernelILj64ELj8ELj2EiiffffEEv20rocsparse_direction_T3_S2_llNS_24const_host_device_scalarIT7_EEPKT2_PKS2_PKT4_PKT5_llS5_PT6_ll16rocsparse_order_21rocsparse_index_base_b ; -- Begin function _ZN9rocsparseL29bsrmmnt_small_blockdim_kernelILj64ELj8ELj2EiiffffEEv20rocsparse_direction_T3_S2_llNS_24const_host_device_scalarIT7_EEPKT2_PKS2_PKT4_PKT5_llS5_PT6_ll16rocsparse_order_21rocsparse_index_base_b
	.p2align	8
	.type	_ZN9rocsparseL29bsrmmnt_small_blockdim_kernelILj64ELj8ELj2EiiffffEEv20rocsparse_direction_T3_S2_llNS_24const_host_device_scalarIT7_EEPKT2_PKS2_PKT4_PKT5_llS5_PT6_ll16rocsparse_order_21rocsparse_index_base_b,@function
_ZN9rocsparseL29bsrmmnt_small_blockdim_kernelILj64ELj8ELj2EiiffffEEv20rocsparse_direction_T3_S2_llNS_24const_host_device_scalarIT7_EEPKT2_PKS2_PKT4_PKT5_llS5_PT6_ll16rocsparse_order_21rocsparse_index_base_b: ; @_ZN9rocsparseL29bsrmmnt_small_blockdim_kernelILj64ELj8ELj2EiiffffEEv20rocsparse_direction_T3_S2_llNS_24const_host_device_scalarIT7_EEPKT2_PKS2_PKT4_PKT5_llS5_PT6_ll16rocsparse_order_21rocsparse_index_base_b
; %bb.0:
	s_load_dwordx4 s[16:19], s[4:5], 0x78
	s_load_dwordx2 s[28:29], s[4:5], 0x20
	s_load_dwordx2 s[30:31], s[4:5], 0x58
	s_waitcnt lgkmcnt(0)
	s_bitcmp1_b32 s18, 0
	s_cselect_b64 s[2:3], -1, 0
	s_xor_b64 s[0:1], s[2:3], -1
	s_and_b64 vcc, exec, s[2:3]
	s_cbranch_vccnz .LBB21_2
; %bb.1:
	s_load_dword s28, s[28:29], 0x0
.LBB21_2:
	s_andn2_b64 vcc, exec, s[0:1]
	s_cbranch_vccnz .LBB21_4
; %bb.3:
	s_load_dword s30, s[30:31], 0x0
.LBB21_4:
	s_waitcnt lgkmcnt(0)
	v_cmp_eq_f32_e64 s[0:1], s28, 0
	v_cmp_eq_f32_e64 s[2:3], s30, 1.0
	s_and_b64 s[0:1], s[0:1], s[2:3]
	s_and_b64 vcc, exec, s[0:1]
	s_cbranch_vccnz .LBB21_30
; %bb.5:
	s_load_dword s0, s[4:5], 0x94
	s_load_dwordx4 s[20:23], s[4:5], 0x0
	s_waitcnt lgkmcnt(0)
	s_and_b32 s0, s0, 0xffff
	s_mul_i32 s6, s6, s0
	v_add_u32_e32 v1, s6, v0
	v_lshrrev_b32_e32 v2, 4, v1
	v_cmp_gt_i32_e32 vcc, s21, v2
	s_and_saveexec_b64 s[0:1], vcc
	s_cbranch_execz .LBB21_30
; %bb.6:
	s_cmp_lt_i32 s22, 1
	s_cbranch_scc1 .LBB21_30
; %bb.7:
	s_load_dwordx8 s[8:15], s[4:5], 0x28
	v_lshlrev_b32_e32 v2, 2, v2
	v_and_b32_e32 v6, 7, v0
	v_lshrrev_b32_e32 v0, 3, v0
	v_mov_b32_e32 v4, 0x300
	s_waitcnt lgkmcnt(0)
	global_load_dwordx2 v[2:3], v2, s[8:9]
	s_load_dwordx4 s[24:27], s[4:5], 0x60
	s_load_dwordx2 s[6:7], s[4:5], 0x48
	s_cmp_lg_u32 s16, 1
	v_lshl_or_b32 v7, v0, 5, v4
	s_cselect_b64 s[8:9], -1, 0
	s_cmp_eq_u32 s20, 0
	v_mul_u32_u24_e32 v4, 3, v6
	v_lshrrev_b32_e32 v13, 3, v1
	s_movk_i32 s2, 0x60
	v_lshlrev_b32_e32 v4, 2, v4
	s_cselect_b64 s[0:1], -1, 0
	v_cndmask_b32_e64 v18, 0, 1, s[0:1]
	v_mad_u32_u24 v10, v0, s2, v4
	s_and_b64 s[0:1], s[0:1], exec
	s_waitcnt lgkmcnt(0)
	v_mad_u64_u32 v[4:5], s[0:1], v13, s26, 0
	v_bfe_u32 v17, v1, 3, 1
	v_mov_b32_e32 v1, 0
	v_mul_u32_u24_e32 v8, 0x60, v0
	v_mov_b32_e32 v0, v5
	v_lshlrev_b32_e32 v11, 2, v13
	v_mad_u64_u32 v[14:15], s[0:1], v13, s27, v[0:1]
	v_mov_b32_e32 v16, s25
	v_add_co_u32_e32 v11, vcc, s24, v11
	v_mov_b32_e32 v5, v14
	v_addc_co_u32_e32 v12, vcc, 0, v16, vcc
	v_lshlrev_b64 v[4:5], 2, v[4:5]
	v_add_co_u32_e32 v13, vcc, s24, v4
	s_mov_b32 s16, 0
	v_cmp_neq_f32_e64 s[4:5], s30, 0
	v_lshl_or_b32 v9, v6, 2, v7
	s_cselect_b32 s23, 1, 2
	v_addc_co_u32_e32 v14, vcc, v16, v5, vcc
	v_lshlrev_b32_e32 v17, v18, v17
	s_waitcnt vmcnt(0)
	v_subrev_u32_e32 v15, s17, v2
	v_subrev_u32_e32 v16, s17, v3
	v_cmp_lt_i32_e64 s[0:1], v2, v3
	s_branch .LBB21_9
.LBB21_8:                               ;   in Loop: Header=BB21_9 Depth=1
	s_or_b64 exec, exec, s[2:3]
	s_add_i32 s16, s16, 8
	s_cmp_lt_i32 s16, s22
	s_cbranch_scc0 .LBB21_30
.LBB21_9:                               ; =>This Loop Header: Depth=1
                                        ;     Child Loop BB21_12 Depth 2
                                        ;       Child Loop BB21_16 Depth 3
	v_or_b32_e32 v2, s16, v6
	v_ashrrev_i32_e32 v3, 31, v2
	v_mov_b32_e32 v18, v1
	s_and_saveexec_b64 s[18:19], s[0:1]
	s_cbranch_execz .LBB21_18
; %bb.10:                               ;   in Loop: Header=BB21_9 Depth=1
	v_lshlrev_b64 v[4:5], 2, v[2:3]
	v_mov_b32_e32 v0, s15
	v_add_co_u32_e64 v19, s[2:3], s14, v4
	v_cmp_gt_i32_e32 vcc, s22, v2
	v_addc_co_u32_e64 v20, s[2:3], v0, v5, s[2:3]
	s_mov_b64 s[20:21], 0
	v_mov_b32_e32 v18, 0
	v_mov_b32_e32 v21, v15
	s_branch .LBB21_12
.LBB21_11:                              ;   in Loop: Header=BB21_12 Depth=2
	s_or_b64 exec, exec, s[24:25]
	v_add_u32_e32 v21, 8, v21
	v_cmp_ge_i32_e64 s[2:3], v21, v16
	s_or_b64 s[20:21], s[2:3], s[20:21]
	s_andn2_b64 exec, exec, s[20:21]
	s_cbranch_execz .LBB21_17
.LBB21_12:                              ;   Parent Loop BB21_9 Depth=1
                                        ; =>  This Loop Header: Depth=2
                                        ;       Child Loop BB21_16 Depth 3
	v_add_u32_e32 v4, v21, v6
	v_cmp_lt_i32_e64 s[2:3], v4, v16
	v_mov_b32_e32 v22, 0
	v_mov_b32_e32 v0, 0
	;; [unrolled: 1-line block ×3, first 2 shown]
	s_and_saveexec_b64 s[24:25], s[2:3]
	s_cbranch_execz .LBB21_14
; %bb.13:                               ;   in Loop: Header=BB21_12 Depth=2
	v_ashrrev_i32_e32 v5, 31, v4
	v_lshlrev_b64 v[22:23], 2, v[4:5]
	v_mov_b32_e32 v0, s11
	v_add_co_u32_e64 v22, s[2:3], s10, v22
	v_addc_co_u32_e64 v23, s[2:3], v0, v23, s[2:3]
	v_lshl_or_b32 v0, v4, 2, v17
	v_lshlrev_b64 v[4:5], 2, v[0:1]
	global_load_dword v26, v[22:23], off
	v_mov_b32_e32 v25, s13
	v_add_co_u32_e64 v22, s[2:3], s12, v4
	v_or_b32_e32 v0, s23, v0
	v_addc_co_u32_e64 v23, s[2:3], v25, v5, s[2:3]
	v_lshlrev_b64 v[4:5], 2, v[0:1]
	v_add_co_u32_e64 v24, s[2:3], s12, v4
	v_addc_co_u32_e64 v25, s[2:3], v25, v5, s[2:3]
	global_load_dword v0, v[22:23], off
	global_load_dword v5, v[24:25], off
	s_waitcnt vmcnt(2)
	v_subrev_u32_e32 v4, s17, v26
	v_lshlrev_b32_e32 v22, 1, v4
.LBB21_14:                              ;   in Loop: Header=BB21_12 Depth=2
	s_or_b64 exec, exec, s[24:25]
	ds_write_b32 v9, v22
	s_waitcnt vmcnt(0)
	ds_write2_b32 v10, v0, v5 offset1:1
	s_waitcnt lgkmcnt(0)
	; wave barrier
	s_waitcnt lgkmcnt(0)
	s_and_saveexec_b64 s[24:25], vcc
	s_cbranch_execz .LBB21_11
; %bb.15:                               ;   in Loop: Header=BB21_12 Depth=2
	s_mov_b32 s29, 0
	v_mov_b32_e32 v0, v8
.LBB21_16:                              ;   Parent Loop BB21_9 Depth=1
                                        ;     Parent Loop BB21_12 Depth=2
                                        ; =>    This Inner Loop Header: Depth=3
	v_add_u32_e32 v4, s29, v7
	ds_read_b64 v[4:5], v4
	s_add_i32 s29, s29, 8
	s_cmp_lg_u32 s29, 32
	s_waitcnt lgkmcnt(0)
	v_ashrrev_i32_e32 v26, 31, v4
	v_mul_lo_u32 v28, v4, s7
	v_mad_u64_u32 v[22:23], s[2:3], v4, s6, 0
	v_mul_lo_u32 v31, v26, s6
	v_add_u32_e32 v4, 1, v4
	v_ashrrev_i32_e32 v27, 31, v5
	v_add_u32_e32 v30, 1, v5
	v_add3_u32 v23, v23, v28, v31
	v_mul_lo_u32 v29, v5, s7
	v_mad_u64_u32 v[24:25], s[2:3], v5, s6, 0
	v_ashrrev_i32_e32 v32, 31, v4
	v_mul_lo_u32 v33, v4, s7
	v_mad_u64_u32 v[4:5], s[2:3], v4, s6, 0
	v_mul_lo_u32 v34, v27, s6
	v_mad_u64_u32 v[26:27], s[2:3], v30, s6, 0
	v_lshlrev_b64 v[22:23], 2, v[22:23]
	v_add3_u32 v25, v25, v29, v34
	v_add_co_u32_e64 v22, s[2:3], v19, v22
	v_mul_lo_u32 v28, v32, s6
	v_lshlrev_b64 v[24:25], 2, v[24:25]
	v_addc_co_u32_e64 v23, s[2:3], v20, v23, s[2:3]
	v_ashrrev_i32_e32 v35, 31, v30
	v_add3_u32 v5, v5, v33, v28
	v_add_co_u32_e64 v24, s[2:3], v19, v24
	v_mul_lo_u32 v36, v30, s7
	v_mul_lo_u32 v29, v35, s6
	v_lshlrev_b64 v[4:5], 2, v[4:5]
	v_addc_co_u32_e64 v25, s[2:3], v20, v25, s[2:3]
	v_add3_u32 v27, v27, v36, v29
	v_add_co_u32_e64 v4, s[2:3], v19, v4
	v_lshlrev_b64 v[26:27], 2, v[26:27]
	v_addc_co_u32_e64 v5, s[2:3], v20, v5, s[2:3]
	v_add_co_u32_e64 v26, s[2:3], v19, v26
	v_addc_co_u32_e64 v27, s[2:3], v20, v27, s[2:3]
	global_load_dword v28, v[22:23], off
	global_load_dword v29, v[4:5], off
	;; [unrolled: 1-line block ×4, first 2 shown]
	ds_read_b64 v[4:5], v0
	ds_read2_b32 v[22:23], v0 offset0:3 offset1:4
	v_add_u32_e32 v0, 24, v0
	s_waitcnt vmcnt(3) lgkmcnt(1)
	v_fmac_f32_e32 v18, v4, v28
	s_waitcnt vmcnt(2)
	v_fmac_f32_e32 v18, v5, v29
	s_waitcnt vmcnt(1) lgkmcnt(0)
	v_fmac_f32_e32 v18, v22, v30
	s_waitcnt vmcnt(0)
	v_fmac_f32_e32 v18, v23, v31
	s_cbranch_scc1 .LBB21_16
	s_branch .LBB21_11
.LBB21_17:                              ;   in Loop: Header=BB21_9 Depth=1
	s_or_b64 exec, exec, s[20:21]
.LBB21_18:                              ;   in Loop: Header=BB21_9 Depth=1
	s_or_b64 exec, exec, s[18:19]
	v_cmp_gt_i32_e32 vcc, s22, v2
	s_and_saveexec_b64 s[2:3], vcc
	s_cbranch_execz .LBB21_8
; %bb.19:                               ;   in Loop: Header=BB21_9 Depth=1
	s_mov_b64 s[18:19], -1
	s_and_b64 vcc, exec, s[4:5]
	s_cbranch_vccz .LBB21_25
; %bb.20:                               ;   in Loop: Header=BB21_9 Depth=1
	s_and_b64 vcc, exec, s[8:9]
	s_cbranch_vccz .LBB21_22
; %bb.21:                               ;   in Loop: Header=BB21_9 Depth=1
	v_lshlrev_b64 v[4:5], 2, v[2:3]
	v_add_co_u32_e32 v4, vcc, v13, v4
	v_addc_co_u32_e32 v5, vcc, v14, v5, vcc
	global_load_dword v0, v[4:5], off
	v_mul_f32_e32 v19, s28, v18
	s_mov_b64 s[18:19], 0
	s_waitcnt vmcnt(0)
	v_fmac_f32_e32 v19, s30, v0
	global_store_dword v[4:5], v19, off
.LBB21_22:                              ;   in Loop: Header=BB21_9 Depth=1
	s_andn2_b64 vcc, exec, s[18:19]
	s_cbranch_vccnz .LBB21_24
; %bb.23:                               ;   in Loop: Header=BB21_9 Depth=1
	v_mul_lo_u32 v0, v3, s26
	v_mul_lo_u32 v19, v2, s27
	v_mad_u64_u32 v[4:5], s[18:19], v2, s26, 0
	v_add3_u32 v5, v5, v19, v0
	v_lshlrev_b64 v[4:5], 2, v[4:5]
	v_add_co_u32_e32 v4, vcc, v11, v4
	v_addc_co_u32_e32 v5, vcc, v12, v5, vcc
	global_load_dword v0, v[4:5], off
	v_mul_f32_e32 v19, s28, v18
	s_waitcnt vmcnt(0)
	v_fmac_f32_e32 v19, s30, v0
	global_store_dword v[4:5], v19, off
.LBB21_24:                              ;   in Loop: Header=BB21_9 Depth=1
	s_mov_b64 s[18:19], 0
.LBB21_25:                              ;   in Loop: Header=BB21_9 Depth=1
	s_andn2_b64 vcc, exec, s[18:19]
	s_cbranch_vccnz .LBB21_8
; %bb.26:                               ;   in Loop: Header=BB21_9 Depth=1
	v_mul_f32_e32 v0, s28, v18
	s_mov_b64 s[18:19], -1
	s_and_b64 vcc, exec, s[8:9]
	s_cbranch_vccz .LBB21_28
; %bb.27:                               ;   in Loop: Header=BB21_9 Depth=1
	v_lshlrev_b64 v[4:5], 2, v[2:3]
	v_add_co_u32_e32 v4, vcc, v13, v4
	v_addc_co_u32_e32 v5, vcc, v14, v5, vcc
	global_store_dword v[4:5], v0, off
	s_mov_b64 s[18:19], 0
.LBB21_28:                              ;   in Loop: Header=BB21_9 Depth=1
	s_andn2_b64 vcc, exec, s[18:19]
	s_cbranch_vccnz .LBB21_8
; %bb.29:                               ;   in Loop: Header=BB21_9 Depth=1
	v_mul_lo_u32 v4, v3, s26
	v_mul_lo_u32 v5, v2, s27
	v_mad_u64_u32 v[2:3], s[18:19], v2, s26, 0
	v_add3_u32 v3, v3, v5, v4
	v_lshlrev_b64 v[2:3], 2, v[2:3]
	v_add_co_u32_e32 v2, vcc, v11, v2
	v_addc_co_u32_e32 v3, vcc, v12, v3, vcc
	global_store_dword v[2:3], v0, off
	s_branch .LBB21_8
.LBB21_30:
	s_endpgm
	.section	.rodata,"a",@progbits
	.p2align	6, 0x0
	.amdhsa_kernel _ZN9rocsparseL29bsrmmnt_small_blockdim_kernelILj64ELj8ELj2EiiffffEEv20rocsparse_direction_T3_S2_llNS_24const_host_device_scalarIT7_EEPKT2_PKS2_PKT4_PKT5_llS5_PT6_ll16rocsparse_order_21rocsparse_index_base_b
		.amdhsa_group_segment_fixed_size 1024
		.amdhsa_private_segment_fixed_size 0
		.amdhsa_kernarg_size 392
		.amdhsa_user_sgpr_count 6
		.amdhsa_user_sgpr_private_segment_buffer 1
		.amdhsa_user_sgpr_dispatch_ptr 0
		.amdhsa_user_sgpr_queue_ptr 0
		.amdhsa_user_sgpr_kernarg_segment_ptr 1
		.amdhsa_user_sgpr_dispatch_id 0
		.amdhsa_user_sgpr_flat_scratch_init 0
		.amdhsa_user_sgpr_kernarg_preload_length 0
		.amdhsa_user_sgpr_kernarg_preload_offset 0
		.amdhsa_user_sgpr_private_segment_size 0
		.amdhsa_uses_dynamic_stack 0
		.amdhsa_system_sgpr_private_segment_wavefront_offset 0
		.amdhsa_system_sgpr_workgroup_id_x 1
		.amdhsa_system_sgpr_workgroup_id_y 0
		.amdhsa_system_sgpr_workgroup_id_z 0
		.amdhsa_system_sgpr_workgroup_info 0
		.amdhsa_system_vgpr_workitem_id 0
		.amdhsa_next_free_vgpr 37
		.amdhsa_next_free_sgpr 32
		.amdhsa_accum_offset 40
		.amdhsa_reserve_vcc 1
		.amdhsa_reserve_flat_scratch 0
		.amdhsa_float_round_mode_32 0
		.amdhsa_float_round_mode_16_64 0
		.amdhsa_float_denorm_mode_32 3
		.amdhsa_float_denorm_mode_16_64 3
		.amdhsa_dx10_clamp 1
		.amdhsa_ieee_mode 1
		.amdhsa_fp16_overflow 0
		.amdhsa_tg_split 0
		.amdhsa_exception_fp_ieee_invalid_op 0
		.amdhsa_exception_fp_denorm_src 0
		.amdhsa_exception_fp_ieee_div_zero 0
		.amdhsa_exception_fp_ieee_overflow 0
		.amdhsa_exception_fp_ieee_underflow 0
		.amdhsa_exception_fp_ieee_inexact 0
		.amdhsa_exception_int_div_zero 0
	.end_amdhsa_kernel
	.section	.text._ZN9rocsparseL29bsrmmnt_small_blockdim_kernelILj64ELj8ELj2EiiffffEEv20rocsparse_direction_T3_S2_llNS_24const_host_device_scalarIT7_EEPKT2_PKS2_PKT4_PKT5_llS5_PT6_ll16rocsparse_order_21rocsparse_index_base_b,"axG",@progbits,_ZN9rocsparseL29bsrmmnt_small_blockdim_kernelILj64ELj8ELj2EiiffffEEv20rocsparse_direction_T3_S2_llNS_24const_host_device_scalarIT7_EEPKT2_PKS2_PKT4_PKT5_llS5_PT6_ll16rocsparse_order_21rocsparse_index_base_b,comdat
.Lfunc_end21:
	.size	_ZN9rocsparseL29bsrmmnt_small_blockdim_kernelILj64ELj8ELj2EiiffffEEv20rocsparse_direction_T3_S2_llNS_24const_host_device_scalarIT7_EEPKT2_PKS2_PKT4_PKT5_llS5_PT6_ll16rocsparse_order_21rocsparse_index_base_b, .Lfunc_end21-_ZN9rocsparseL29bsrmmnt_small_blockdim_kernelILj64ELj8ELj2EiiffffEEv20rocsparse_direction_T3_S2_llNS_24const_host_device_scalarIT7_EEPKT2_PKS2_PKT4_PKT5_llS5_PT6_ll16rocsparse_order_21rocsparse_index_base_b
                                        ; -- End function
	.section	.AMDGPU.csdata,"",@progbits
; Kernel info:
; codeLenInByte = 1400
; NumSgprs: 36
; NumVgprs: 37
; NumAgprs: 0
; TotalNumVgprs: 37
; ScratchSize: 0
; MemoryBound: 0
; FloatMode: 240
; IeeeMode: 1
; LDSByteSize: 1024 bytes/workgroup (compile time only)
; SGPRBlocks: 4
; VGPRBlocks: 4
; NumSGPRsForWavesPerEU: 36
; NumVGPRsForWavesPerEU: 37
; AccumOffset: 40
; Occupancy: 8
; WaveLimiterHint : 0
; COMPUTE_PGM_RSRC2:SCRATCH_EN: 0
; COMPUTE_PGM_RSRC2:USER_SGPR: 6
; COMPUTE_PGM_RSRC2:TRAP_HANDLER: 0
; COMPUTE_PGM_RSRC2:TGID_X_EN: 1
; COMPUTE_PGM_RSRC2:TGID_Y_EN: 0
; COMPUTE_PGM_RSRC2:TGID_Z_EN: 0
; COMPUTE_PGM_RSRC2:TIDIG_COMP_CNT: 0
; COMPUTE_PGM_RSRC3_GFX90A:ACCUM_OFFSET: 9
; COMPUTE_PGM_RSRC3_GFX90A:TG_SPLIT: 0
	.section	.text._ZN9rocsparseL29bsrmmnt_small_blockdim_kernelILj64ELj16ELj2EiiffffEEv20rocsparse_direction_T3_S2_llNS_24const_host_device_scalarIT7_EEPKT2_PKS2_PKT4_PKT5_llS5_PT6_ll16rocsparse_order_21rocsparse_index_base_b,"axG",@progbits,_ZN9rocsparseL29bsrmmnt_small_blockdim_kernelILj64ELj16ELj2EiiffffEEv20rocsparse_direction_T3_S2_llNS_24const_host_device_scalarIT7_EEPKT2_PKS2_PKT4_PKT5_llS5_PT6_ll16rocsparse_order_21rocsparse_index_base_b,comdat
	.globl	_ZN9rocsparseL29bsrmmnt_small_blockdim_kernelILj64ELj16ELj2EiiffffEEv20rocsparse_direction_T3_S2_llNS_24const_host_device_scalarIT7_EEPKT2_PKS2_PKT4_PKT5_llS5_PT6_ll16rocsparse_order_21rocsparse_index_base_b ; -- Begin function _ZN9rocsparseL29bsrmmnt_small_blockdim_kernelILj64ELj16ELj2EiiffffEEv20rocsparse_direction_T3_S2_llNS_24const_host_device_scalarIT7_EEPKT2_PKS2_PKT4_PKT5_llS5_PT6_ll16rocsparse_order_21rocsparse_index_base_b
	.p2align	8
	.type	_ZN9rocsparseL29bsrmmnt_small_blockdim_kernelILj64ELj16ELj2EiiffffEEv20rocsparse_direction_T3_S2_llNS_24const_host_device_scalarIT7_EEPKT2_PKS2_PKT4_PKT5_llS5_PT6_ll16rocsparse_order_21rocsparse_index_base_b,@function
_ZN9rocsparseL29bsrmmnt_small_blockdim_kernelILj64ELj16ELj2EiiffffEEv20rocsparse_direction_T3_S2_llNS_24const_host_device_scalarIT7_EEPKT2_PKS2_PKT4_PKT5_llS5_PT6_ll16rocsparse_order_21rocsparse_index_base_b: ; @_ZN9rocsparseL29bsrmmnt_small_blockdim_kernelILj64ELj16ELj2EiiffffEEv20rocsparse_direction_T3_S2_llNS_24const_host_device_scalarIT7_EEPKT2_PKS2_PKT4_PKT5_llS5_PT6_ll16rocsparse_order_21rocsparse_index_base_b
; %bb.0:
	s_load_dwordx4 s[16:19], s[4:5], 0x78
	s_load_dwordx2 s[28:29], s[4:5], 0x20
	s_load_dwordx2 s[30:31], s[4:5], 0x58
	s_waitcnt lgkmcnt(0)
	s_bitcmp1_b32 s18, 0
	s_cselect_b64 s[2:3], -1, 0
	s_xor_b64 s[0:1], s[2:3], -1
	s_and_b64 vcc, exec, s[2:3]
	s_cbranch_vccnz .LBB22_2
; %bb.1:
	s_load_dword s28, s[28:29], 0x0
.LBB22_2:
	s_andn2_b64 vcc, exec, s[0:1]
	s_cbranch_vccnz .LBB22_4
; %bb.3:
	s_load_dword s30, s[30:31], 0x0
.LBB22_4:
	s_waitcnt lgkmcnt(0)
	v_cmp_eq_f32_e64 s[0:1], s28, 0
	v_cmp_eq_f32_e64 s[2:3], s30, 1.0
	s_and_b64 s[0:1], s[0:1], s[2:3]
	s_and_b64 vcc, exec, s[0:1]
	s_cbranch_vccnz .LBB22_30
; %bb.5:
	s_load_dword s0, s[4:5], 0x94
	s_load_dwordx4 s[20:23], s[4:5], 0x0
	s_waitcnt lgkmcnt(0)
	s_and_b32 s0, s0, 0xffff
	s_mul_i32 s6, s6, s0
	v_add_u32_e32 v1, s6, v0
	v_lshrrev_b32_e32 v2, 5, v1
	v_cmp_gt_i32_e32 vcc, s21, v2
	s_and_saveexec_b64 s[0:1], vcc
	s_cbranch_execz .LBB22_30
; %bb.6:
	s_cmp_lt_i32 s22, 1
	s_cbranch_scc1 .LBB22_30
; %bb.7:
	s_load_dwordx8 s[8:15], s[4:5], 0x28
	v_lshlrev_b32_e32 v2, 2, v2
	v_and_b32_e32 v6, 15, v0
	v_lshrrev_b32_e32 v0, 4, v0
	v_mov_b32_e32 v4, 0x300
	s_waitcnt lgkmcnt(0)
	global_load_dwordx2 v[2:3], v2, s[8:9]
	s_load_dwordx4 s[24:27], s[4:5], 0x60
	s_load_dwordx2 s[6:7], s[4:5], 0x48
	s_cmp_lg_u32 s16, 1
	v_lshl_or_b32 v7, v0, 6, v4
	s_cselect_b64 s[8:9], -1, 0
	s_cmp_eq_u32 s20, 0
	v_mul_u32_u24_e32 v4, 3, v6
	v_lshrrev_b32_e32 v13, 4, v1
	s_movk_i32 s2, 0xc0
	v_lshlrev_b32_e32 v4, 2, v4
	s_cselect_b64 s[0:1], -1, 0
	v_cndmask_b32_e64 v18, 0, 1, s[0:1]
	v_mad_u32_u24 v10, v0, s2, v4
	s_and_b64 s[0:1], s[0:1], exec
	s_waitcnt lgkmcnt(0)
	v_mad_u64_u32 v[4:5], s[0:1], v13, s26, 0
	v_bfe_u32 v17, v1, 4, 1
	v_mov_b32_e32 v1, 0
	v_mul_u32_u24_e32 v8, 0xc0, v0
	v_mov_b32_e32 v0, v5
	v_lshlrev_b32_e32 v11, 2, v13
	v_mad_u64_u32 v[14:15], s[0:1], v13, s27, v[0:1]
	v_mov_b32_e32 v16, s25
	v_add_co_u32_e32 v11, vcc, s24, v11
	v_mov_b32_e32 v5, v14
	v_addc_co_u32_e32 v12, vcc, 0, v16, vcc
	v_lshlrev_b64 v[4:5], 2, v[4:5]
	v_add_co_u32_e32 v13, vcc, s24, v4
	s_mov_b32 s16, 0
	v_cmp_neq_f32_e64 s[4:5], s30, 0
	v_lshl_or_b32 v9, v6, 2, v7
	s_cselect_b32 s23, 1, 2
	v_addc_co_u32_e32 v14, vcc, v16, v5, vcc
	v_lshlrev_b32_e32 v17, v18, v17
	s_waitcnt vmcnt(0)
	v_subrev_u32_e32 v15, s17, v2
	v_subrev_u32_e32 v16, s17, v3
	v_cmp_lt_i32_e64 s[0:1], v2, v3
	s_branch .LBB22_9
.LBB22_8:                               ;   in Loop: Header=BB22_9 Depth=1
	s_or_b64 exec, exec, s[2:3]
	s_add_i32 s16, s16, 16
	s_cmp_lt_i32 s16, s22
	s_cbranch_scc0 .LBB22_30
.LBB22_9:                               ; =>This Loop Header: Depth=1
                                        ;     Child Loop BB22_12 Depth 2
                                        ;       Child Loop BB22_16 Depth 3
	v_or_b32_e32 v2, s16, v6
	v_ashrrev_i32_e32 v3, 31, v2
	v_mov_b32_e32 v18, v1
	s_and_saveexec_b64 s[18:19], s[0:1]
	s_cbranch_execz .LBB22_18
; %bb.10:                               ;   in Loop: Header=BB22_9 Depth=1
	v_lshlrev_b64 v[4:5], 2, v[2:3]
	v_mov_b32_e32 v0, s15
	v_add_co_u32_e64 v19, s[2:3], s14, v4
	v_cmp_gt_i32_e32 vcc, s22, v2
	v_addc_co_u32_e64 v20, s[2:3], v0, v5, s[2:3]
	s_mov_b64 s[20:21], 0
	v_mov_b32_e32 v18, 0
	v_mov_b32_e32 v21, v15
	s_branch .LBB22_12
.LBB22_11:                              ;   in Loop: Header=BB22_12 Depth=2
	s_or_b64 exec, exec, s[24:25]
	v_add_u32_e32 v21, 16, v21
	v_cmp_ge_i32_e64 s[2:3], v21, v16
	s_or_b64 s[20:21], s[2:3], s[20:21]
	s_andn2_b64 exec, exec, s[20:21]
	s_cbranch_execz .LBB22_17
.LBB22_12:                              ;   Parent Loop BB22_9 Depth=1
                                        ; =>  This Loop Header: Depth=2
                                        ;       Child Loop BB22_16 Depth 3
	v_add_u32_e32 v4, v21, v6
	v_cmp_lt_i32_e64 s[2:3], v4, v16
	v_mov_b32_e32 v22, 0
	v_mov_b32_e32 v0, 0
	;; [unrolled: 1-line block ×3, first 2 shown]
	s_and_saveexec_b64 s[24:25], s[2:3]
	s_cbranch_execz .LBB22_14
; %bb.13:                               ;   in Loop: Header=BB22_12 Depth=2
	v_ashrrev_i32_e32 v5, 31, v4
	v_lshlrev_b64 v[22:23], 2, v[4:5]
	v_mov_b32_e32 v0, s11
	v_add_co_u32_e64 v22, s[2:3], s10, v22
	v_addc_co_u32_e64 v23, s[2:3], v0, v23, s[2:3]
	v_lshl_or_b32 v0, v4, 2, v17
	v_lshlrev_b64 v[4:5], 2, v[0:1]
	global_load_dword v26, v[22:23], off
	v_mov_b32_e32 v25, s13
	v_add_co_u32_e64 v22, s[2:3], s12, v4
	v_or_b32_e32 v0, s23, v0
	v_addc_co_u32_e64 v23, s[2:3], v25, v5, s[2:3]
	v_lshlrev_b64 v[4:5], 2, v[0:1]
	v_add_co_u32_e64 v24, s[2:3], s12, v4
	v_addc_co_u32_e64 v25, s[2:3], v25, v5, s[2:3]
	global_load_dword v0, v[22:23], off
	global_load_dword v5, v[24:25], off
	s_waitcnt vmcnt(2)
	v_subrev_u32_e32 v4, s17, v26
	v_lshlrev_b32_e32 v22, 1, v4
.LBB22_14:                              ;   in Loop: Header=BB22_12 Depth=2
	s_or_b64 exec, exec, s[24:25]
	ds_write_b32 v9, v22
	s_waitcnt vmcnt(0)
	ds_write2_b32 v10, v0, v5 offset1:1
	s_waitcnt lgkmcnt(0)
	; wave barrier
	s_waitcnt lgkmcnt(0)
	s_and_saveexec_b64 s[24:25], vcc
	s_cbranch_execz .LBB22_11
; %bb.15:                               ;   in Loop: Header=BB22_12 Depth=2
	s_mov_b32 s29, 0
	v_mov_b32_e32 v0, v8
.LBB22_16:                              ;   Parent Loop BB22_9 Depth=1
                                        ;     Parent Loop BB22_12 Depth=2
                                        ; =>    This Inner Loop Header: Depth=3
	v_add_u32_e32 v4, s29, v7
	ds_read_b64 v[4:5], v4
	s_add_i32 s29, s29, 8
	s_cmp_lg_u32 s29, 64
	s_waitcnt lgkmcnt(0)
	v_ashrrev_i32_e32 v26, 31, v4
	v_mul_lo_u32 v28, v4, s7
	v_mad_u64_u32 v[22:23], s[2:3], v4, s6, 0
	v_mul_lo_u32 v31, v26, s6
	v_add_u32_e32 v4, 1, v4
	v_ashrrev_i32_e32 v27, 31, v5
	v_add_u32_e32 v30, 1, v5
	v_add3_u32 v23, v23, v28, v31
	v_mul_lo_u32 v29, v5, s7
	v_mad_u64_u32 v[24:25], s[2:3], v5, s6, 0
	v_ashrrev_i32_e32 v32, 31, v4
	v_mul_lo_u32 v33, v4, s7
	v_mad_u64_u32 v[4:5], s[2:3], v4, s6, 0
	v_mul_lo_u32 v34, v27, s6
	v_mad_u64_u32 v[26:27], s[2:3], v30, s6, 0
	v_lshlrev_b64 v[22:23], 2, v[22:23]
	v_add3_u32 v25, v25, v29, v34
	v_add_co_u32_e64 v22, s[2:3], v19, v22
	v_mul_lo_u32 v28, v32, s6
	v_lshlrev_b64 v[24:25], 2, v[24:25]
	v_addc_co_u32_e64 v23, s[2:3], v20, v23, s[2:3]
	v_ashrrev_i32_e32 v35, 31, v30
	v_add3_u32 v5, v5, v33, v28
	v_add_co_u32_e64 v24, s[2:3], v19, v24
	v_mul_lo_u32 v36, v30, s7
	v_mul_lo_u32 v29, v35, s6
	v_lshlrev_b64 v[4:5], 2, v[4:5]
	v_addc_co_u32_e64 v25, s[2:3], v20, v25, s[2:3]
	v_add3_u32 v27, v27, v36, v29
	v_add_co_u32_e64 v4, s[2:3], v19, v4
	v_lshlrev_b64 v[26:27], 2, v[26:27]
	v_addc_co_u32_e64 v5, s[2:3], v20, v5, s[2:3]
	v_add_co_u32_e64 v26, s[2:3], v19, v26
	v_addc_co_u32_e64 v27, s[2:3], v20, v27, s[2:3]
	global_load_dword v28, v[22:23], off
	global_load_dword v29, v[4:5], off
	;; [unrolled: 1-line block ×4, first 2 shown]
	ds_read_b64 v[4:5], v0
	ds_read2_b32 v[22:23], v0 offset0:3 offset1:4
	v_add_u32_e32 v0, 24, v0
	s_waitcnt vmcnt(3) lgkmcnt(1)
	v_fmac_f32_e32 v18, v4, v28
	s_waitcnt vmcnt(2)
	v_fmac_f32_e32 v18, v5, v29
	s_waitcnt vmcnt(1) lgkmcnt(0)
	v_fmac_f32_e32 v18, v22, v30
	s_waitcnt vmcnt(0)
	v_fmac_f32_e32 v18, v23, v31
	s_cbranch_scc1 .LBB22_16
	s_branch .LBB22_11
.LBB22_17:                              ;   in Loop: Header=BB22_9 Depth=1
	s_or_b64 exec, exec, s[20:21]
.LBB22_18:                              ;   in Loop: Header=BB22_9 Depth=1
	s_or_b64 exec, exec, s[18:19]
	v_cmp_gt_i32_e32 vcc, s22, v2
	s_and_saveexec_b64 s[2:3], vcc
	s_cbranch_execz .LBB22_8
; %bb.19:                               ;   in Loop: Header=BB22_9 Depth=1
	s_mov_b64 s[18:19], -1
	s_and_b64 vcc, exec, s[4:5]
	s_cbranch_vccz .LBB22_25
; %bb.20:                               ;   in Loop: Header=BB22_9 Depth=1
	s_and_b64 vcc, exec, s[8:9]
	s_cbranch_vccz .LBB22_22
; %bb.21:                               ;   in Loop: Header=BB22_9 Depth=1
	v_lshlrev_b64 v[4:5], 2, v[2:3]
	v_add_co_u32_e32 v4, vcc, v13, v4
	v_addc_co_u32_e32 v5, vcc, v14, v5, vcc
	global_load_dword v0, v[4:5], off
	v_mul_f32_e32 v19, s28, v18
	s_mov_b64 s[18:19], 0
	s_waitcnt vmcnt(0)
	v_fmac_f32_e32 v19, s30, v0
	global_store_dword v[4:5], v19, off
.LBB22_22:                              ;   in Loop: Header=BB22_9 Depth=1
	s_andn2_b64 vcc, exec, s[18:19]
	s_cbranch_vccnz .LBB22_24
; %bb.23:                               ;   in Loop: Header=BB22_9 Depth=1
	v_mul_lo_u32 v0, v3, s26
	v_mul_lo_u32 v19, v2, s27
	v_mad_u64_u32 v[4:5], s[18:19], v2, s26, 0
	v_add3_u32 v5, v5, v19, v0
	v_lshlrev_b64 v[4:5], 2, v[4:5]
	v_add_co_u32_e32 v4, vcc, v11, v4
	v_addc_co_u32_e32 v5, vcc, v12, v5, vcc
	global_load_dword v0, v[4:5], off
	v_mul_f32_e32 v19, s28, v18
	s_waitcnt vmcnt(0)
	v_fmac_f32_e32 v19, s30, v0
	global_store_dword v[4:5], v19, off
.LBB22_24:                              ;   in Loop: Header=BB22_9 Depth=1
	s_mov_b64 s[18:19], 0
.LBB22_25:                              ;   in Loop: Header=BB22_9 Depth=1
	s_andn2_b64 vcc, exec, s[18:19]
	s_cbranch_vccnz .LBB22_8
; %bb.26:                               ;   in Loop: Header=BB22_9 Depth=1
	v_mul_f32_e32 v0, s28, v18
	s_mov_b64 s[18:19], -1
	s_and_b64 vcc, exec, s[8:9]
	s_cbranch_vccz .LBB22_28
; %bb.27:                               ;   in Loop: Header=BB22_9 Depth=1
	v_lshlrev_b64 v[4:5], 2, v[2:3]
	v_add_co_u32_e32 v4, vcc, v13, v4
	v_addc_co_u32_e32 v5, vcc, v14, v5, vcc
	global_store_dword v[4:5], v0, off
	s_mov_b64 s[18:19], 0
.LBB22_28:                              ;   in Loop: Header=BB22_9 Depth=1
	s_andn2_b64 vcc, exec, s[18:19]
	s_cbranch_vccnz .LBB22_8
; %bb.29:                               ;   in Loop: Header=BB22_9 Depth=1
	v_mul_lo_u32 v4, v3, s26
	v_mul_lo_u32 v5, v2, s27
	v_mad_u64_u32 v[2:3], s[18:19], v2, s26, 0
	v_add3_u32 v3, v3, v5, v4
	v_lshlrev_b64 v[2:3], 2, v[2:3]
	v_add_co_u32_e32 v2, vcc, v11, v2
	v_addc_co_u32_e32 v3, vcc, v12, v3, vcc
	global_store_dword v[2:3], v0, off
	s_branch .LBB22_8
.LBB22_30:
	s_endpgm
	.section	.rodata,"a",@progbits
	.p2align	6, 0x0
	.amdhsa_kernel _ZN9rocsparseL29bsrmmnt_small_blockdim_kernelILj64ELj16ELj2EiiffffEEv20rocsparse_direction_T3_S2_llNS_24const_host_device_scalarIT7_EEPKT2_PKS2_PKT4_PKT5_llS5_PT6_ll16rocsparse_order_21rocsparse_index_base_b
		.amdhsa_group_segment_fixed_size 1024
		.amdhsa_private_segment_fixed_size 0
		.amdhsa_kernarg_size 392
		.amdhsa_user_sgpr_count 6
		.amdhsa_user_sgpr_private_segment_buffer 1
		.amdhsa_user_sgpr_dispatch_ptr 0
		.amdhsa_user_sgpr_queue_ptr 0
		.amdhsa_user_sgpr_kernarg_segment_ptr 1
		.amdhsa_user_sgpr_dispatch_id 0
		.amdhsa_user_sgpr_flat_scratch_init 0
		.amdhsa_user_sgpr_kernarg_preload_length 0
		.amdhsa_user_sgpr_kernarg_preload_offset 0
		.amdhsa_user_sgpr_private_segment_size 0
		.amdhsa_uses_dynamic_stack 0
		.amdhsa_system_sgpr_private_segment_wavefront_offset 0
		.amdhsa_system_sgpr_workgroup_id_x 1
		.amdhsa_system_sgpr_workgroup_id_y 0
		.amdhsa_system_sgpr_workgroup_id_z 0
		.amdhsa_system_sgpr_workgroup_info 0
		.amdhsa_system_vgpr_workitem_id 0
		.amdhsa_next_free_vgpr 37
		.amdhsa_next_free_sgpr 32
		.amdhsa_accum_offset 40
		.amdhsa_reserve_vcc 1
		.amdhsa_reserve_flat_scratch 0
		.amdhsa_float_round_mode_32 0
		.amdhsa_float_round_mode_16_64 0
		.amdhsa_float_denorm_mode_32 3
		.amdhsa_float_denorm_mode_16_64 3
		.amdhsa_dx10_clamp 1
		.amdhsa_ieee_mode 1
		.amdhsa_fp16_overflow 0
		.amdhsa_tg_split 0
		.amdhsa_exception_fp_ieee_invalid_op 0
		.amdhsa_exception_fp_denorm_src 0
		.amdhsa_exception_fp_ieee_div_zero 0
		.amdhsa_exception_fp_ieee_overflow 0
		.amdhsa_exception_fp_ieee_underflow 0
		.amdhsa_exception_fp_ieee_inexact 0
		.amdhsa_exception_int_div_zero 0
	.end_amdhsa_kernel
	.section	.text._ZN9rocsparseL29bsrmmnt_small_blockdim_kernelILj64ELj16ELj2EiiffffEEv20rocsparse_direction_T3_S2_llNS_24const_host_device_scalarIT7_EEPKT2_PKS2_PKT4_PKT5_llS5_PT6_ll16rocsparse_order_21rocsparse_index_base_b,"axG",@progbits,_ZN9rocsparseL29bsrmmnt_small_blockdim_kernelILj64ELj16ELj2EiiffffEEv20rocsparse_direction_T3_S2_llNS_24const_host_device_scalarIT7_EEPKT2_PKS2_PKT4_PKT5_llS5_PT6_ll16rocsparse_order_21rocsparse_index_base_b,comdat
.Lfunc_end22:
	.size	_ZN9rocsparseL29bsrmmnt_small_blockdim_kernelILj64ELj16ELj2EiiffffEEv20rocsparse_direction_T3_S2_llNS_24const_host_device_scalarIT7_EEPKT2_PKS2_PKT4_PKT5_llS5_PT6_ll16rocsparse_order_21rocsparse_index_base_b, .Lfunc_end22-_ZN9rocsparseL29bsrmmnt_small_blockdim_kernelILj64ELj16ELj2EiiffffEEv20rocsparse_direction_T3_S2_llNS_24const_host_device_scalarIT7_EEPKT2_PKS2_PKT4_PKT5_llS5_PT6_ll16rocsparse_order_21rocsparse_index_base_b
                                        ; -- End function
	.section	.AMDGPU.csdata,"",@progbits
; Kernel info:
; codeLenInByte = 1400
; NumSgprs: 36
; NumVgprs: 37
; NumAgprs: 0
; TotalNumVgprs: 37
; ScratchSize: 0
; MemoryBound: 0
; FloatMode: 240
; IeeeMode: 1
; LDSByteSize: 1024 bytes/workgroup (compile time only)
; SGPRBlocks: 4
; VGPRBlocks: 4
; NumSGPRsForWavesPerEU: 36
; NumVGPRsForWavesPerEU: 37
; AccumOffset: 40
; Occupancy: 8
; WaveLimiterHint : 0
; COMPUTE_PGM_RSRC2:SCRATCH_EN: 0
; COMPUTE_PGM_RSRC2:USER_SGPR: 6
; COMPUTE_PGM_RSRC2:TRAP_HANDLER: 0
; COMPUTE_PGM_RSRC2:TGID_X_EN: 1
; COMPUTE_PGM_RSRC2:TGID_Y_EN: 0
; COMPUTE_PGM_RSRC2:TGID_Z_EN: 0
; COMPUTE_PGM_RSRC2:TIDIG_COMP_CNT: 0
; COMPUTE_PGM_RSRC3_GFX90A:ACCUM_OFFSET: 9
; COMPUTE_PGM_RSRC3_GFX90A:TG_SPLIT: 0
	.section	.text._ZN9rocsparseL29bsrmmnt_small_blockdim_kernelILj64ELj32ELj2EiiffffEEv20rocsparse_direction_T3_S2_llNS_24const_host_device_scalarIT7_EEPKT2_PKS2_PKT4_PKT5_llS5_PT6_ll16rocsparse_order_21rocsparse_index_base_b,"axG",@progbits,_ZN9rocsparseL29bsrmmnt_small_blockdim_kernelILj64ELj32ELj2EiiffffEEv20rocsparse_direction_T3_S2_llNS_24const_host_device_scalarIT7_EEPKT2_PKS2_PKT4_PKT5_llS5_PT6_ll16rocsparse_order_21rocsparse_index_base_b,comdat
	.globl	_ZN9rocsparseL29bsrmmnt_small_blockdim_kernelILj64ELj32ELj2EiiffffEEv20rocsparse_direction_T3_S2_llNS_24const_host_device_scalarIT7_EEPKT2_PKS2_PKT4_PKT5_llS5_PT6_ll16rocsparse_order_21rocsparse_index_base_b ; -- Begin function _ZN9rocsparseL29bsrmmnt_small_blockdim_kernelILj64ELj32ELj2EiiffffEEv20rocsparse_direction_T3_S2_llNS_24const_host_device_scalarIT7_EEPKT2_PKS2_PKT4_PKT5_llS5_PT6_ll16rocsparse_order_21rocsparse_index_base_b
	.p2align	8
	.type	_ZN9rocsparseL29bsrmmnt_small_blockdim_kernelILj64ELj32ELj2EiiffffEEv20rocsparse_direction_T3_S2_llNS_24const_host_device_scalarIT7_EEPKT2_PKS2_PKT4_PKT5_llS5_PT6_ll16rocsparse_order_21rocsparse_index_base_b,@function
_ZN9rocsparseL29bsrmmnt_small_blockdim_kernelILj64ELj32ELj2EiiffffEEv20rocsparse_direction_T3_S2_llNS_24const_host_device_scalarIT7_EEPKT2_PKS2_PKT4_PKT5_llS5_PT6_ll16rocsparse_order_21rocsparse_index_base_b: ; @_ZN9rocsparseL29bsrmmnt_small_blockdim_kernelILj64ELj32ELj2EiiffffEEv20rocsparse_direction_T3_S2_llNS_24const_host_device_scalarIT7_EEPKT2_PKS2_PKT4_PKT5_llS5_PT6_ll16rocsparse_order_21rocsparse_index_base_b
; %bb.0:
	s_load_dwordx4 s[16:19], s[4:5], 0x78
	s_load_dwordx2 s[28:29], s[4:5], 0x20
	s_load_dwordx2 s[30:31], s[4:5], 0x58
	s_waitcnt lgkmcnt(0)
	s_bitcmp1_b32 s18, 0
	s_cselect_b64 s[2:3], -1, 0
	s_xor_b64 s[0:1], s[2:3], -1
	s_and_b64 vcc, exec, s[2:3]
	s_cbranch_vccnz .LBB23_2
; %bb.1:
	s_load_dword s28, s[28:29], 0x0
.LBB23_2:
	s_andn2_b64 vcc, exec, s[0:1]
	s_cbranch_vccnz .LBB23_4
; %bb.3:
	s_load_dword s30, s[30:31], 0x0
.LBB23_4:
	s_waitcnt lgkmcnt(0)
	v_cmp_eq_f32_e64 s[0:1], s28, 0
	v_cmp_eq_f32_e64 s[2:3], s30, 1.0
	s_and_b64 s[0:1], s[0:1], s[2:3]
	s_and_b64 vcc, exec, s[0:1]
	s_cbranch_vccnz .LBB23_30
; %bb.5:
	s_load_dword s0, s[4:5], 0x94
	s_load_dwordx4 s[20:23], s[4:5], 0x0
	s_waitcnt lgkmcnt(0)
	s_and_b32 s0, s0, 0xffff
	s_mul_i32 s6, s6, s0
	v_add_u32_e32 v1, s6, v0
	v_lshrrev_b32_e32 v2, 6, v1
	v_cmp_gt_i32_e32 vcc, s21, v2
	s_and_saveexec_b64 s[0:1], vcc
	s_cbranch_execz .LBB23_30
; %bb.6:
	s_cmp_lt_i32 s22, 1
	s_cbranch_scc1 .LBB23_30
; %bb.7:
	s_load_dwordx8 s[8:15], s[4:5], 0x28
	v_lshlrev_b32_e32 v2, 2, v2
	v_and_b32_e32 v6, 31, v0
	v_lshrrev_b32_e32 v0, 5, v0
	v_mov_b32_e32 v4, 0x300
	s_waitcnt lgkmcnt(0)
	global_load_dwordx2 v[2:3], v2, s[8:9]
	s_load_dwordx4 s[24:27], s[4:5], 0x60
	s_load_dwordx2 s[6:7], s[4:5], 0x48
	s_cmp_lg_u32 s16, 1
	v_lshl_or_b32 v7, v0, 7, v4
	s_cselect_b64 s[8:9], -1, 0
	s_cmp_eq_u32 s20, 0
	v_mul_u32_u24_e32 v4, 3, v6
	v_lshrrev_b32_e32 v13, 5, v1
	s_movk_i32 s2, 0x180
	v_lshlrev_b32_e32 v4, 2, v4
	s_cselect_b64 s[0:1], -1, 0
	v_cndmask_b32_e64 v18, 0, 1, s[0:1]
	v_mad_u32_u24 v10, v0, s2, v4
	s_and_b64 s[0:1], s[0:1], exec
	s_waitcnt lgkmcnt(0)
	v_mad_u64_u32 v[4:5], s[0:1], v13, s26, 0
	v_bfe_u32 v17, v1, 5, 1
	v_mov_b32_e32 v1, 0
	v_mul_u32_u24_e32 v8, 0x180, v0
	v_mov_b32_e32 v0, v5
	v_lshlrev_b32_e32 v11, 2, v13
	v_mad_u64_u32 v[14:15], s[0:1], v13, s27, v[0:1]
	v_mov_b32_e32 v16, s25
	v_add_co_u32_e32 v11, vcc, s24, v11
	v_mov_b32_e32 v5, v14
	v_addc_co_u32_e32 v12, vcc, 0, v16, vcc
	v_lshlrev_b64 v[4:5], 2, v[4:5]
	v_add_co_u32_e32 v13, vcc, s24, v4
	s_mov_b32 s16, 0
	v_cmp_neq_f32_e64 s[4:5], s30, 0
	v_lshl_or_b32 v9, v6, 2, v7
	s_cselect_b32 s23, 1, 2
	v_addc_co_u32_e32 v14, vcc, v16, v5, vcc
	v_lshlrev_b32_e32 v17, v18, v17
	s_waitcnt vmcnt(0)
	v_subrev_u32_e32 v15, s17, v2
	v_subrev_u32_e32 v16, s17, v3
	v_cmp_lt_i32_e64 s[0:1], v2, v3
	s_branch .LBB23_9
.LBB23_8:                               ;   in Loop: Header=BB23_9 Depth=1
	s_or_b64 exec, exec, s[2:3]
	s_add_i32 s16, s16, 32
	s_cmp_lt_i32 s16, s22
	s_cbranch_scc0 .LBB23_30
.LBB23_9:                               ; =>This Loop Header: Depth=1
                                        ;     Child Loop BB23_12 Depth 2
                                        ;       Child Loop BB23_16 Depth 3
	v_or_b32_e32 v2, s16, v6
	v_ashrrev_i32_e32 v3, 31, v2
	v_mov_b32_e32 v18, v1
	s_and_saveexec_b64 s[18:19], s[0:1]
	s_cbranch_execz .LBB23_18
; %bb.10:                               ;   in Loop: Header=BB23_9 Depth=1
	v_lshlrev_b64 v[4:5], 2, v[2:3]
	v_mov_b32_e32 v0, s15
	v_add_co_u32_e64 v19, s[2:3], s14, v4
	v_cmp_gt_i32_e32 vcc, s22, v2
	v_addc_co_u32_e64 v20, s[2:3], v0, v5, s[2:3]
	s_mov_b64 s[20:21], 0
	v_mov_b32_e32 v18, 0
	v_mov_b32_e32 v21, v15
	s_branch .LBB23_12
.LBB23_11:                              ;   in Loop: Header=BB23_12 Depth=2
	s_or_b64 exec, exec, s[24:25]
	v_add_u32_e32 v21, 32, v21
	v_cmp_ge_i32_e64 s[2:3], v21, v16
	s_or_b64 s[20:21], s[2:3], s[20:21]
	s_andn2_b64 exec, exec, s[20:21]
	s_cbranch_execz .LBB23_17
.LBB23_12:                              ;   Parent Loop BB23_9 Depth=1
                                        ; =>  This Loop Header: Depth=2
                                        ;       Child Loop BB23_16 Depth 3
	v_add_u32_e32 v4, v21, v6
	v_cmp_lt_i32_e64 s[2:3], v4, v16
	v_mov_b32_e32 v22, 0
	v_mov_b32_e32 v0, 0
	;; [unrolled: 1-line block ×3, first 2 shown]
	s_and_saveexec_b64 s[24:25], s[2:3]
	s_cbranch_execz .LBB23_14
; %bb.13:                               ;   in Loop: Header=BB23_12 Depth=2
	v_ashrrev_i32_e32 v5, 31, v4
	v_lshlrev_b64 v[22:23], 2, v[4:5]
	v_mov_b32_e32 v0, s11
	v_add_co_u32_e64 v22, s[2:3], s10, v22
	v_addc_co_u32_e64 v23, s[2:3], v0, v23, s[2:3]
	v_lshl_or_b32 v0, v4, 2, v17
	v_lshlrev_b64 v[4:5], 2, v[0:1]
	global_load_dword v26, v[22:23], off
	v_mov_b32_e32 v25, s13
	v_add_co_u32_e64 v22, s[2:3], s12, v4
	v_or_b32_e32 v0, s23, v0
	v_addc_co_u32_e64 v23, s[2:3], v25, v5, s[2:3]
	v_lshlrev_b64 v[4:5], 2, v[0:1]
	v_add_co_u32_e64 v24, s[2:3], s12, v4
	v_addc_co_u32_e64 v25, s[2:3], v25, v5, s[2:3]
	global_load_dword v0, v[22:23], off
	global_load_dword v5, v[24:25], off
	s_waitcnt vmcnt(2)
	v_subrev_u32_e32 v4, s17, v26
	v_lshlrev_b32_e32 v22, 1, v4
.LBB23_14:                              ;   in Loop: Header=BB23_12 Depth=2
	s_or_b64 exec, exec, s[24:25]
	ds_write_b32 v9, v22
	s_waitcnt vmcnt(0)
	ds_write2_b32 v10, v0, v5 offset1:1
	s_waitcnt lgkmcnt(0)
	; wave barrier
	s_waitcnt lgkmcnt(0)
	s_and_saveexec_b64 s[24:25], vcc
	s_cbranch_execz .LBB23_11
; %bb.15:                               ;   in Loop: Header=BB23_12 Depth=2
	s_mov_b32 s29, 0
	v_mov_b32_e32 v0, v8
.LBB23_16:                              ;   Parent Loop BB23_9 Depth=1
                                        ;     Parent Loop BB23_12 Depth=2
                                        ; =>    This Inner Loop Header: Depth=3
	v_add_u32_e32 v4, s29, v7
	ds_read_b64 v[4:5], v4
	s_add_i32 s29, s29, 8
	s_cmpk_lg_i32 s29, 0x80
	s_waitcnt lgkmcnt(0)
	v_ashrrev_i32_e32 v26, 31, v4
	v_mul_lo_u32 v28, v4, s7
	v_mad_u64_u32 v[22:23], s[2:3], v4, s6, 0
	v_mul_lo_u32 v31, v26, s6
	v_add_u32_e32 v4, 1, v4
	v_ashrrev_i32_e32 v27, 31, v5
	v_add_u32_e32 v30, 1, v5
	v_add3_u32 v23, v23, v28, v31
	v_mul_lo_u32 v29, v5, s7
	v_mad_u64_u32 v[24:25], s[2:3], v5, s6, 0
	v_ashrrev_i32_e32 v32, 31, v4
	v_mul_lo_u32 v33, v4, s7
	v_mad_u64_u32 v[4:5], s[2:3], v4, s6, 0
	v_mul_lo_u32 v34, v27, s6
	v_mad_u64_u32 v[26:27], s[2:3], v30, s6, 0
	v_lshlrev_b64 v[22:23], 2, v[22:23]
	v_add3_u32 v25, v25, v29, v34
	v_add_co_u32_e64 v22, s[2:3], v19, v22
	v_mul_lo_u32 v28, v32, s6
	v_lshlrev_b64 v[24:25], 2, v[24:25]
	v_addc_co_u32_e64 v23, s[2:3], v20, v23, s[2:3]
	v_ashrrev_i32_e32 v35, 31, v30
	v_add3_u32 v5, v5, v33, v28
	v_add_co_u32_e64 v24, s[2:3], v19, v24
	v_mul_lo_u32 v36, v30, s7
	v_mul_lo_u32 v29, v35, s6
	v_lshlrev_b64 v[4:5], 2, v[4:5]
	v_addc_co_u32_e64 v25, s[2:3], v20, v25, s[2:3]
	v_add3_u32 v27, v27, v36, v29
	v_add_co_u32_e64 v4, s[2:3], v19, v4
	v_lshlrev_b64 v[26:27], 2, v[26:27]
	v_addc_co_u32_e64 v5, s[2:3], v20, v5, s[2:3]
	v_add_co_u32_e64 v26, s[2:3], v19, v26
	v_addc_co_u32_e64 v27, s[2:3], v20, v27, s[2:3]
	global_load_dword v28, v[22:23], off
	global_load_dword v29, v[4:5], off
	;; [unrolled: 1-line block ×4, first 2 shown]
	ds_read_b64 v[4:5], v0
	ds_read2_b32 v[22:23], v0 offset0:3 offset1:4
	v_add_u32_e32 v0, 24, v0
	s_waitcnt vmcnt(3) lgkmcnt(1)
	v_fmac_f32_e32 v18, v4, v28
	s_waitcnt vmcnt(2)
	v_fmac_f32_e32 v18, v5, v29
	s_waitcnt vmcnt(1) lgkmcnt(0)
	v_fmac_f32_e32 v18, v22, v30
	s_waitcnt vmcnt(0)
	v_fmac_f32_e32 v18, v23, v31
	s_cbranch_scc1 .LBB23_16
	s_branch .LBB23_11
.LBB23_17:                              ;   in Loop: Header=BB23_9 Depth=1
	s_or_b64 exec, exec, s[20:21]
.LBB23_18:                              ;   in Loop: Header=BB23_9 Depth=1
	s_or_b64 exec, exec, s[18:19]
	v_cmp_gt_i32_e32 vcc, s22, v2
	s_and_saveexec_b64 s[2:3], vcc
	s_cbranch_execz .LBB23_8
; %bb.19:                               ;   in Loop: Header=BB23_9 Depth=1
	s_mov_b64 s[18:19], -1
	s_and_b64 vcc, exec, s[4:5]
	s_cbranch_vccz .LBB23_25
; %bb.20:                               ;   in Loop: Header=BB23_9 Depth=1
	s_and_b64 vcc, exec, s[8:9]
	s_cbranch_vccz .LBB23_22
; %bb.21:                               ;   in Loop: Header=BB23_9 Depth=1
	v_lshlrev_b64 v[4:5], 2, v[2:3]
	v_add_co_u32_e32 v4, vcc, v13, v4
	v_addc_co_u32_e32 v5, vcc, v14, v5, vcc
	global_load_dword v0, v[4:5], off
	v_mul_f32_e32 v19, s28, v18
	s_mov_b64 s[18:19], 0
	s_waitcnt vmcnt(0)
	v_fmac_f32_e32 v19, s30, v0
	global_store_dword v[4:5], v19, off
.LBB23_22:                              ;   in Loop: Header=BB23_9 Depth=1
	s_andn2_b64 vcc, exec, s[18:19]
	s_cbranch_vccnz .LBB23_24
; %bb.23:                               ;   in Loop: Header=BB23_9 Depth=1
	v_mul_lo_u32 v0, v3, s26
	v_mul_lo_u32 v19, v2, s27
	v_mad_u64_u32 v[4:5], s[18:19], v2, s26, 0
	v_add3_u32 v5, v5, v19, v0
	v_lshlrev_b64 v[4:5], 2, v[4:5]
	v_add_co_u32_e32 v4, vcc, v11, v4
	v_addc_co_u32_e32 v5, vcc, v12, v5, vcc
	global_load_dword v0, v[4:5], off
	v_mul_f32_e32 v19, s28, v18
	s_waitcnt vmcnt(0)
	v_fmac_f32_e32 v19, s30, v0
	global_store_dword v[4:5], v19, off
.LBB23_24:                              ;   in Loop: Header=BB23_9 Depth=1
	s_mov_b64 s[18:19], 0
.LBB23_25:                              ;   in Loop: Header=BB23_9 Depth=1
	s_andn2_b64 vcc, exec, s[18:19]
	s_cbranch_vccnz .LBB23_8
; %bb.26:                               ;   in Loop: Header=BB23_9 Depth=1
	v_mul_f32_e32 v0, s28, v18
	s_mov_b64 s[18:19], -1
	s_and_b64 vcc, exec, s[8:9]
	s_cbranch_vccz .LBB23_28
; %bb.27:                               ;   in Loop: Header=BB23_9 Depth=1
	v_lshlrev_b64 v[4:5], 2, v[2:3]
	v_add_co_u32_e32 v4, vcc, v13, v4
	v_addc_co_u32_e32 v5, vcc, v14, v5, vcc
	global_store_dword v[4:5], v0, off
	s_mov_b64 s[18:19], 0
.LBB23_28:                              ;   in Loop: Header=BB23_9 Depth=1
	s_andn2_b64 vcc, exec, s[18:19]
	s_cbranch_vccnz .LBB23_8
; %bb.29:                               ;   in Loop: Header=BB23_9 Depth=1
	v_mul_lo_u32 v4, v3, s26
	v_mul_lo_u32 v5, v2, s27
	v_mad_u64_u32 v[2:3], s[18:19], v2, s26, 0
	v_add3_u32 v3, v3, v5, v4
	v_lshlrev_b64 v[2:3], 2, v[2:3]
	v_add_co_u32_e32 v2, vcc, v11, v2
	v_addc_co_u32_e32 v3, vcc, v12, v3, vcc
	global_store_dword v[2:3], v0, off
	s_branch .LBB23_8
.LBB23_30:
	s_endpgm
	.section	.rodata,"a",@progbits
	.p2align	6, 0x0
	.amdhsa_kernel _ZN9rocsparseL29bsrmmnt_small_blockdim_kernelILj64ELj32ELj2EiiffffEEv20rocsparse_direction_T3_S2_llNS_24const_host_device_scalarIT7_EEPKT2_PKS2_PKT4_PKT5_llS5_PT6_ll16rocsparse_order_21rocsparse_index_base_b
		.amdhsa_group_segment_fixed_size 1024
		.amdhsa_private_segment_fixed_size 0
		.amdhsa_kernarg_size 392
		.amdhsa_user_sgpr_count 6
		.amdhsa_user_sgpr_private_segment_buffer 1
		.amdhsa_user_sgpr_dispatch_ptr 0
		.amdhsa_user_sgpr_queue_ptr 0
		.amdhsa_user_sgpr_kernarg_segment_ptr 1
		.amdhsa_user_sgpr_dispatch_id 0
		.amdhsa_user_sgpr_flat_scratch_init 0
		.amdhsa_user_sgpr_kernarg_preload_length 0
		.amdhsa_user_sgpr_kernarg_preload_offset 0
		.amdhsa_user_sgpr_private_segment_size 0
		.amdhsa_uses_dynamic_stack 0
		.amdhsa_system_sgpr_private_segment_wavefront_offset 0
		.amdhsa_system_sgpr_workgroup_id_x 1
		.amdhsa_system_sgpr_workgroup_id_y 0
		.amdhsa_system_sgpr_workgroup_id_z 0
		.amdhsa_system_sgpr_workgroup_info 0
		.amdhsa_system_vgpr_workitem_id 0
		.amdhsa_next_free_vgpr 37
		.amdhsa_next_free_sgpr 32
		.amdhsa_accum_offset 40
		.amdhsa_reserve_vcc 1
		.amdhsa_reserve_flat_scratch 0
		.amdhsa_float_round_mode_32 0
		.amdhsa_float_round_mode_16_64 0
		.amdhsa_float_denorm_mode_32 3
		.amdhsa_float_denorm_mode_16_64 3
		.amdhsa_dx10_clamp 1
		.amdhsa_ieee_mode 1
		.amdhsa_fp16_overflow 0
		.amdhsa_tg_split 0
		.amdhsa_exception_fp_ieee_invalid_op 0
		.amdhsa_exception_fp_denorm_src 0
		.amdhsa_exception_fp_ieee_div_zero 0
		.amdhsa_exception_fp_ieee_overflow 0
		.amdhsa_exception_fp_ieee_underflow 0
		.amdhsa_exception_fp_ieee_inexact 0
		.amdhsa_exception_int_div_zero 0
	.end_amdhsa_kernel
	.section	.text._ZN9rocsparseL29bsrmmnt_small_blockdim_kernelILj64ELj32ELj2EiiffffEEv20rocsparse_direction_T3_S2_llNS_24const_host_device_scalarIT7_EEPKT2_PKS2_PKT4_PKT5_llS5_PT6_ll16rocsparse_order_21rocsparse_index_base_b,"axG",@progbits,_ZN9rocsparseL29bsrmmnt_small_blockdim_kernelILj64ELj32ELj2EiiffffEEv20rocsparse_direction_T3_S2_llNS_24const_host_device_scalarIT7_EEPKT2_PKS2_PKT4_PKT5_llS5_PT6_ll16rocsparse_order_21rocsparse_index_base_b,comdat
.Lfunc_end23:
	.size	_ZN9rocsparseL29bsrmmnt_small_blockdim_kernelILj64ELj32ELj2EiiffffEEv20rocsparse_direction_T3_S2_llNS_24const_host_device_scalarIT7_EEPKT2_PKS2_PKT4_PKT5_llS5_PT6_ll16rocsparse_order_21rocsparse_index_base_b, .Lfunc_end23-_ZN9rocsparseL29bsrmmnt_small_blockdim_kernelILj64ELj32ELj2EiiffffEEv20rocsparse_direction_T3_S2_llNS_24const_host_device_scalarIT7_EEPKT2_PKS2_PKT4_PKT5_llS5_PT6_ll16rocsparse_order_21rocsparse_index_base_b
                                        ; -- End function
	.section	.AMDGPU.csdata,"",@progbits
; Kernel info:
; codeLenInByte = 1400
; NumSgprs: 36
; NumVgprs: 37
; NumAgprs: 0
; TotalNumVgprs: 37
; ScratchSize: 0
; MemoryBound: 0
; FloatMode: 240
; IeeeMode: 1
; LDSByteSize: 1024 bytes/workgroup (compile time only)
; SGPRBlocks: 4
; VGPRBlocks: 4
; NumSGPRsForWavesPerEU: 36
; NumVGPRsForWavesPerEU: 37
; AccumOffset: 40
; Occupancy: 8
; WaveLimiterHint : 0
; COMPUTE_PGM_RSRC2:SCRATCH_EN: 0
; COMPUTE_PGM_RSRC2:USER_SGPR: 6
; COMPUTE_PGM_RSRC2:TRAP_HANDLER: 0
; COMPUTE_PGM_RSRC2:TGID_X_EN: 1
; COMPUTE_PGM_RSRC2:TGID_Y_EN: 0
; COMPUTE_PGM_RSRC2:TGID_Z_EN: 0
; COMPUTE_PGM_RSRC2:TIDIG_COMP_CNT: 0
; COMPUTE_PGM_RSRC3_GFX90A:ACCUM_OFFSET: 9
; COMPUTE_PGM_RSRC3_GFX90A:TG_SPLIT: 0
	.section	.text._ZN9rocsparseL29bsrmmnt_small_blockdim_kernelILj64ELj64ELj2EiiffffEEv20rocsparse_direction_T3_S2_llNS_24const_host_device_scalarIT7_EEPKT2_PKS2_PKT4_PKT5_llS5_PT6_ll16rocsparse_order_21rocsparse_index_base_b,"axG",@progbits,_ZN9rocsparseL29bsrmmnt_small_blockdim_kernelILj64ELj64ELj2EiiffffEEv20rocsparse_direction_T3_S2_llNS_24const_host_device_scalarIT7_EEPKT2_PKS2_PKT4_PKT5_llS5_PT6_ll16rocsparse_order_21rocsparse_index_base_b,comdat
	.globl	_ZN9rocsparseL29bsrmmnt_small_blockdim_kernelILj64ELj64ELj2EiiffffEEv20rocsparse_direction_T3_S2_llNS_24const_host_device_scalarIT7_EEPKT2_PKS2_PKT4_PKT5_llS5_PT6_ll16rocsparse_order_21rocsparse_index_base_b ; -- Begin function _ZN9rocsparseL29bsrmmnt_small_blockdim_kernelILj64ELj64ELj2EiiffffEEv20rocsparse_direction_T3_S2_llNS_24const_host_device_scalarIT7_EEPKT2_PKS2_PKT4_PKT5_llS5_PT6_ll16rocsparse_order_21rocsparse_index_base_b
	.p2align	8
	.type	_ZN9rocsparseL29bsrmmnt_small_blockdim_kernelILj64ELj64ELj2EiiffffEEv20rocsparse_direction_T3_S2_llNS_24const_host_device_scalarIT7_EEPKT2_PKS2_PKT4_PKT5_llS5_PT6_ll16rocsparse_order_21rocsparse_index_base_b,@function
_ZN9rocsparseL29bsrmmnt_small_blockdim_kernelILj64ELj64ELj2EiiffffEEv20rocsparse_direction_T3_S2_llNS_24const_host_device_scalarIT7_EEPKT2_PKS2_PKT4_PKT5_llS5_PT6_ll16rocsparse_order_21rocsparse_index_base_b: ; @_ZN9rocsparseL29bsrmmnt_small_blockdim_kernelILj64ELj64ELj2EiiffffEEv20rocsparse_direction_T3_S2_llNS_24const_host_device_scalarIT7_EEPKT2_PKS2_PKT4_PKT5_llS5_PT6_ll16rocsparse_order_21rocsparse_index_base_b
; %bb.0:
	s_load_dwordx4 s[16:19], s[4:5], 0x78
	s_load_dwordx2 s[28:29], s[4:5], 0x20
	s_load_dwordx2 s[30:31], s[4:5], 0x58
	s_waitcnt lgkmcnt(0)
	s_bitcmp1_b32 s18, 0
	s_cselect_b64 s[2:3], -1, 0
	s_xor_b64 s[0:1], s[2:3], -1
	s_and_b64 vcc, exec, s[2:3]
	s_cbranch_vccnz .LBB24_2
; %bb.1:
	s_load_dword s28, s[28:29], 0x0
.LBB24_2:
	s_andn2_b64 vcc, exec, s[0:1]
	s_cbranch_vccnz .LBB24_4
; %bb.3:
	s_load_dword s30, s[30:31], 0x0
.LBB24_4:
	s_waitcnt lgkmcnt(0)
	v_cmp_eq_f32_e64 s[0:1], s28, 0
	v_cmp_eq_f32_e64 s[2:3], s30, 1.0
	s_and_b64 s[0:1], s[0:1], s[2:3]
	s_and_b64 vcc, exec, s[0:1]
	s_cbranch_vccnz .LBB24_30
; %bb.5:
	s_load_dword s0, s[4:5], 0x94
	s_load_dwordx4 s[20:23], s[4:5], 0x0
	s_waitcnt lgkmcnt(0)
	s_and_b32 s0, s0, 0xffff
	s_mul_i32 s6, s6, s0
	v_add_u32_e32 v1, s6, v0
	v_lshrrev_b32_e32 v2, 7, v1
	v_cmp_gt_i32_e32 vcc, s21, v2
	s_and_saveexec_b64 s[0:1], vcc
	s_cbranch_execz .LBB24_30
; %bb.6:
	s_cmp_lt_i32 s22, 1
	s_cbranch_scc1 .LBB24_30
; %bb.7:
	s_load_dwordx8 s[8:15], s[4:5], 0x28
	v_lshlrev_b32_e32 v2, 2, v2
	s_cmp_lg_u32 s16, 1
	v_lshrrev_b32_e32 v12, 6, v1
	v_mov_b32_e32 v3, 0
	s_waitcnt lgkmcnt(0)
	global_load_dwordx2 v[4:5], v2, s[8:9]
	s_load_dwordx4 s[24:27], s[4:5], 0x60
	s_load_dwordx2 s[6:7], s[4:5], 0x48
	s_cselect_b64 s[8:9], -1, 0
	s_cmp_eq_u32 s20, 0
	s_cselect_b64 s[0:1], -1, 0
	v_mul_u32_u24_e32 v2, 3, v0
	v_cndmask_b32_e64 v17, 0, 1, s[0:1]
	s_and_b64 s[0:1], s[0:1], exec
	s_waitcnt lgkmcnt(0)
	v_mad_u64_u32 v[6:7], s[0:1], v12, s26, 0
	v_lshlrev_b32_e32 v9, 2, v2
	v_mov_b32_e32 v2, v7
	v_lshlrev_b32_e32 v10, 2, v12
	v_mad_u64_u32 v[12:13], s[0:1], v12, s27, v[2:3]
	v_mov_b32_e32 v14, s25
	v_add_co_u32_e32 v10, vcc, s24, v10
	v_mov_b32_e32 v7, v12
	v_addc_co_u32_e32 v11, vcc, 0, v14, vcc
	v_lshlrev_b64 v[6:7], 2, v[6:7]
	v_bfe_u32 v16, v1, 6, 1
	v_mov_b32_e32 v1, 0x300
	v_add_co_u32_e32 v12, vcc, s24, v6
	s_mov_b32 s16, 0
	v_cmp_neq_f32_e64 s[4:5], s30, 0
	v_lshl_or_b32 v8, v0, 2, v1
	s_cselect_b32 s23, 1, 2
	v_addc_co_u32_e32 v13, vcc, v14, v7, vcc
	v_lshlrev_b32_e32 v16, v17, v16
	s_waitcnt vmcnt(0)
	v_subrev_u32_e32 v14, s17, v4
	v_subrev_u32_e32 v15, s17, v5
	v_cmp_lt_i32_e64 s[0:1], v4, v5
	s_branch .LBB24_9
.LBB24_8:                               ;   in Loop: Header=BB24_9 Depth=1
	s_or_b64 exec, exec, s[2:3]
	s_add_i32 s16, s16, 64
	s_cmp_lt_i32 s16, s22
	s_cbranch_scc0 .LBB24_30
.LBB24_9:                               ; =>This Loop Header: Depth=1
                                        ;     Child Loop BB24_12 Depth 2
                                        ;       Child Loop BB24_16 Depth 3
	v_or_b32_e32 v4, s16, v0
	v_ashrrev_i32_e32 v5, 31, v4
	v_mov_b32_e32 v17, v3
	s_and_saveexec_b64 s[18:19], s[0:1]
	s_cbranch_execz .LBB24_18
; %bb.10:                               ;   in Loop: Header=BB24_9 Depth=1
	v_lshlrev_b64 v[6:7], 2, v[4:5]
	v_mov_b32_e32 v2, s15
	v_add_co_u32_e64 v18, s[2:3], s14, v6
	v_cmp_gt_i32_e32 vcc, s22, v4
	v_addc_co_u32_e64 v19, s[2:3], v2, v7, s[2:3]
	s_mov_b64 s[20:21], 0
	v_mov_b32_e32 v17, 0
	v_mov_b32_e32 v20, v14
	s_branch .LBB24_12
.LBB24_11:                              ;   in Loop: Header=BB24_12 Depth=2
	s_or_b64 exec, exec, s[24:25]
	v_add_u32_e32 v20, 64, v20
	v_cmp_ge_i32_e64 s[2:3], v20, v15
	s_or_b64 s[20:21], s[2:3], s[20:21]
	s_andn2_b64 exec, exec, s[20:21]
	s_cbranch_execz .LBB24_17
.LBB24_12:                              ;   Parent Loop BB24_9 Depth=1
                                        ; =>  This Loop Header: Depth=2
                                        ;       Child Loop BB24_16 Depth 3
	v_add_u32_e32 v6, v20, v0
	v_cmp_lt_i32_e64 s[2:3], v6, v15
	v_mov_b32_e32 v21, 0
	v_mov_b32_e32 v2, 0
	;; [unrolled: 1-line block ×3, first 2 shown]
	s_and_saveexec_b64 s[24:25], s[2:3]
	s_cbranch_execz .LBB24_14
; %bb.13:                               ;   in Loop: Header=BB24_12 Depth=2
	v_ashrrev_i32_e32 v7, 31, v6
	v_lshlrev_b64 v[22:23], 2, v[6:7]
	v_mov_b32_e32 v2, s11
	v_add_co_u32_e64 v22, s[2:3], s10, v22
	v_addc_co_u32_e64 v23, s[2:3], v2, v23, s[2:3]
	v_lshl_or_b32 v2, v6, 2, v16
	v_lshlrev_b64 v[6:7], 2, v[2:3]
	global_load_dword v21, v[22:23], off
	v_mov_b32_e32 v25, s13
	v_add_co_u32_e64 v22, s[2:3], s12, v6
	v_or_b32_e32 v2, s23, v2
	v_addc_co_u32_e64 v23, s[2:3], v25, v7, s[2:3]
	v_lshlrev_b64 v[6:7], 2, v[2:3]
	v_add_co_u32_e64 v24, s[2:3], s12, v6
	v_addc_co_u32_e64 v25, s[2:3], v25, v7, s[2:3]
	global_load_dword v2, v[22:23], off
	global_load_dword v7, v[24:25], off
	s_waitcnt vmcnt(2)
	v_subrev_u32_e32 v6, s17, v21
	v_lshlrev_b32_e32 v21, 1, v6
.LBB24_14:                              ;   in Loop: Header=BB24_12 Depth=2
	s_or_b64 exec, exec, s[24:25]
	ds_write_b32 v8, v21
	s_waitcnt vmcnt(0)
	ds_write2_b32 v9, v2, v7 offset1:1
	s_waitcnt lgkmcnt(0)
	; wave barrier
	s_waitcnt lgkmcnt(0)
	s_and_saveexec_b64 s[24:25], vcc
	s_cbranch_execz .LBB24_11
; %bb.15:                               ;   in Loop: Header=BB24_12 Depth=2
	s_mov_b32 s29, 0
	v_mov_b32_e32 v2, 0
.LBB24_16:                              ;   Parent Loop BB24_9 Depth=1
                                        ;     Parent Loop BB24_12 Depth=2
                                        ; =>    This Inner Loop Header: Depth=3
	v_add_u32_e32 v6, s29, v1
	ds_read_b64 v[6:7], v6
	s_add_i32 s29, s29, 8
	s_cmpk_lg_i32 s29, 0x100
	s_waitcnt lgkmcnt(0)
	v_ashrrev_i32_e32 v21, 31, v6
	v_mul_lo_u32 v28, v6, s7
	v_mad_u64_u32 v[22:23], s[2:3], v6, s6, 0
	v_mul_lo_u32 v21, v21, s6
	v_add_u32_e32 v6, 1, v6
	v_ashrrev_i32_e32 v26, 31, v7
	v_add_u32_e32 v27, 1, v7
	v_add3_u32 v23, v23, v28, v21
	v_mul_lo_u32 v29, v7, s7
	v_mad_u64_u32 v[24:25], s[2:3], v7, s6, 0
	v_ashrrev_i32_e32 v30, 31, v6
	v_mul_lo_u32 v31, v6, s7
	v_mad_u64_u32 v[6:7], s[2:3], v6, s6, 0
	v_mul_lo_u32 v32, v26, s6
	v_ashrrev_i32_e32 v33, 31, v27
	v_mul_lo_u32 v34, v27, s7
	v_mad_u64_u32 v[26:27], s[2:3], v27, s6, 0
	v_lshlrev_b64 v[22:23], 2, v[22:23]
	v_add3_u32 v25, v25, v29, v32
	v_add_co_u32_e64 v22, s[2:3], v18, v22
	v_mul_lo_u32 v21, v30, s6
	v_lshlrev_b64 v[24:25], 2, v[24:25]
	v_addc_co_u32_e64 v23, s[2:3], v19, v23, s[2:3]
	v_add3_u32 v7, v7, v31, v21
	v_add_co_u32_e64 v24, s[2:3], v18, v24
	v_mul_lo_u32 v28, v33, s6
	v_lshlrev_b64 v[6:7], 2, v[6:7]
	v_addc_co_u32_e64 v25, s[2:3], v19, v25, s[2:3]
	v_add3_u32 v27, v27, v34, v28
	v_add_co_u32_e64 v6, s[2:3], v18, v6
	v_lshlrev_b64 v[26:27], 2, v[26:27]
	v_addc_co_u32_e64 v7, s[2:3], v19, v7, s[2:3]
	v_add_co_u32_e64 v26, s[2:3], v18, v26
	v_addc_co_u32_e64 v27, s[2:3], v19, v27, s[2:3]
	global_load_dword v21, v[22:23], off
	global_load_dword v28, v[6:7], off
	;; [unrolled: 1-line block ×4, first 2 shown]
	ds_read_b64 v[6:7], v2
	ds_read2_b32 v[22:23], v2 offset0:3 offset1:4
	v_add_u32_e32 v2, 24, v2
	s_waitcnt vmcnt(3) lgkmcnt(1)
	v_fmac_f32_e32 v17, v6, v21
	s_waitcnt vmcnt(2)
	v_fmac_f32_e32 v17, v7, v28
	s_waitcnt vmcnt(1) lgkmcnt(0)
	v_fmac_f32_e32 v17, v22, v29
	s_waitcnt vmcnt(0)
	v_fmac_f32_e32 v17, v23, v30
	s_cbranch_scc1 .LBB24_16
	s_branch .LBB24_11
.LBB24_17:                              ;   in Loop: Header=BB24_9 Depth=1
	s_or_b64 exec, exec, s[20:21]
.LBB24_18:                              ;   in Loop: Header=BB24_9 Depth=1
	s_or_b64 exec, exec, s[18:19]
	v_cmp_gt_i32_e32 vcc, s22, v4
	s_and_saveexec_b64 s[2:3], vcc
	s_cbranch_execz .LBB24_8
; %bb.19:                               ;   in Loop: Header=BB24_9 Depth=1
	s_mov_b64 s[18:19], -1
	s_and_b64 vcc, exec, s[4:5]
	s_cbranch_vccz .LBB24_25
; %bb.20:                               ;   in Loop: Header=BB24_9 Depth=1
	s_and_b64 vcc, exec, s[8:9]
	s_cbranch_vccz .LBB24_22
; %bb.21:                               ;   in Loop: Header=BB24_9 Depth=1
	v_lshlrev_b64 v[6:7], 2, v[4:5]
	v_add_co_u32_e32 v6, vcc, v12, v6
	v_addc_co_u32_e32 v7, vcc, v13, v7, vcc
	global_load_dword v2, v[6:7], off
	v_mul_f32_e32 v18, s28, v17
	s_mov_b64 s[18:19], 0
	s_waitcnt vmcnt(0)
	v_fmac_f32_e32 v18, s30, v2
	global_store_dword v[6:7], v18, off
.LBB24_22:                              ;   in Loop: Header=BB24_9 Depth=1
	s_andn2_b64 vcc, exec, s[18:19]
	s_cbranch_vccnz .LBB24_24
; %bb.23:                               ;   in Loop: Header=BB24_9 Depth=1
	v_mul_lo_u32 v2, v5, s26
	v_mul_lo_u32 v18, v4, s27
	v_mad_u64_u32 v[6:7], s[18:19], v4, s26, 0
	v_add3_u32 v7, v7, v18, v2
	v_lshlrev_b64 v[6:7], 2, v[6:7]
	v_add_co_u32_e32 v6, vcc, v10, v6
	v_addc_co_u32_e32 v7, vcc, v11, v7, vcc
	global_load_dword v2, v[6:7], off
	v_mul_f32_e32 v18, s28, v17
	s_waitcnt vmcnt(0)
	v_fmac_f32_e32 v18, s30, v2
	global_store_dword v[6:7], v18, off
.LBB24_24:                              ;   in Loop: Header=BB24_9 Depth=1
	s_mov_b64 s[18:19], 0
.LBB24_25:                              ;   in Loop: Header=BB24_9 Depth=1
	s_andn2_b64 vcc, exec, s[18:19]
	s_cbranch_vccnz .LBB24_8
; %bb.26:                               ;   in Loop: Header=BB24_9 Depth=1
	v_mul_f32_e32 v2, s28, v17
	s_mov_b64 s[18:19], -1
	s_and_b64 vcc, exec, s[8:9]
	s_cbranch_vccz .LBB24_28
; %bb.27:                               ;   in Loop: Header=BB24_9 Depth=1
	v_lshlrev_b64 v[6:7], 2, v[4:5]
	v_add_co_u32_e32 v6, vcc, v12, v6
	v_addc_co_u32_e32 v7, vcc, v13, v7, vcc
	global_store_dword v[6:7], v2, off
	s_mov_b64 s[18:19], 0
.LBB24_28:                              ;   in Loop: Header=BB24_9 Depth=1
	s_andn2_b64 vcc, exec, s[18:19]
	s_cbranch_vccnz .LBB24_8
; %bb.29:                               ;   in Loop: Header=BB24_9 Depth=1
	v_mul_lo_u32 v6, v5, s26
	v_mul_lo_u32 v7, v4, s27
	v_mad_u64_u32 v[4:5], s[18:19], v4, s26, 0
	v_add3_u32 v5, v5, v7, v6
	v_lshlrev_b64 v[4:5], 2, v[4:5]
	v_add_co_u32_e32 v4, vcc, v10, v4
	v_addc_co_u32_e32 v5, vcc, v11, v5, vcc
	global_store_dword v[4:5], v2, off
	s_branch .LBB24_8
.LBB24_30:
	s_endpgm
	.section	.rodata,"a",@progbits
	.p2align	6, 0x0
	.amdhsa_kernel _ZN9rocsparseL29bsrmmnt_small_blockdim_kernelILj64ELj64ELj2EiiffffEEv20rocsparse_direction_T3_S2_llNS_24const_host_device_scalarIT7_EEPKT2_PKS2_PKT4_PKT5_llS5_PT6_ll16rocsparse_order_21rocsparse_index_base_b
		.amdhsa_group_segment_fixed_size 1024
		.amdhsa_private_segment_fixed_size 0
		.amdhsa_kernarg_size 392
		.amdhsa_user_sgpr_count 6
		.amdhsa_user_sgpr_private_segment_buffer 1
		.amdhsa_user_sgpr_dispatch_ptr 0
		.amdhsa_user_sgpr_queue_ptr 0
		.amdhsa_user_sgpr_kernarg_segment_ptr 1
		.amdhsa_user_sgpr_dispatch_id 0
		.amdhsa_user_sgpr_flat_scratch_init 0
		.amdhsa_user_sgpr_kernarg_preload_length 0
		.amdhsa_user_sgpr_kernarg_preload_offset 0
		.amdhsa_user_sgpr_private_segment_size 0
		.amdhsa_uses_dynamic_stack 0
		.amdhsa_system_sgpr_private_segment_wavefront_offset 0
		.amdhsa_system_sgpr_workgroup_id_x 1
		.amdhsa_system_sgpr_workgroup_id_y 0
		.amdhsa_system_sgpr_workgroup_id_z 0
		.amdhsa_system_sgpr_workgroup_info 0
		.amdhsa_system_vgpr_workitem_id 0
		.amdhsa_next_free_vgpr 35
		.amdhsa_next_free_sgpr 32
		.amdhsa_accum_offset 36
		.amdhsa_reserve_vcc 1
		.amdhsa_reserve_flat_scratch 0
		.amdhsa_float_round_mode_32 0
		.amdhsa_float_round_mode_16_64 0
		.amdhsa_float_denorm_mode_32 3
		.amdhsa_float_denorm_mode_16_64 3
		.amdhsa_dx10_clamp 1
		.amdhsa_ieee_mode 1
		.amdhsa_fp16_overflow 0
		.amdhsa_tg_split 0
		.amdhsa_exception_fp_ieee_invalid_op 0
		.amdhsa_exception_fp_denorm_src 0
		.amdhsa_exception_fp_ieee_div_zero 0
		.amdhsa_exception_fp_ieee_overflow 0
		.amdhsa_exception_fp_ieee_underflow 0
		.amdhsa_exception_fp_ieee_inexact 0
		.amdhsa_exception_int_div_zero 0
	.end_amdhsa_kernel
	.section	.text._ZN9rocsparseL29bsrmmnt_small_blockdim_kernelILj64ELj64ELj2EiiffffEEv20rocsparse_direction_T3_S2_llNS_24const_host_device_scalarIT7_EEPKT2_PKS2_PKT4_PKT5_llS5_PT6_ll16rocsparse_order_21rocsparse_index_base_b,"axG",@progbits,_ZN9rocsparseL29bsrmmnt_small_blockdim_kernelILj64ELj64ELj2EiiffffEEv20rocsparse_direction_T3_S2_llNS_24const_host_device_scalarIT7_EEPKT2_PKS2_PKT4_PKT5_llS5_PT6_ll16rocsparse_order_21rocsparse_index_base_b,comdat
.Lfunc_end24:
	.size	_ZN9rocsparseL29bsrmmnt_small_blockdim_kernelILj64ELj64ELj2EiiffffEEv20rocsparse_direction_T3_S2_llNS_24const_host_device_scalarIT7_EEPKT2_PKS2_PKT4_PKT5_llS5_PT6_ll16rocsparse_order_21rocsparse_index_base_b, .Lfunc_end24-_ZN9rocsparseL29bsrmmnt_small_blockdim_kernelILj64ELj64ELj2EiiffffEEv20rocsparse_direction_T3_S2_llNS_24const_host_device_scalarIT7_EEPKT2_PKS2_PKT4_PKT5_llS5_PT6_ll16rocsparse_order_21rocsparse_index_base_b
                                        ; -- End function
	.section	.AMDGPU.csdata,"",@progbits
; Kernel info:
; codeLenInByte = 1364
; NumSgprs: 36
; NumVgprs: 35
; NumAgprs: 0
; TotalNumVgprs: 35
; ScratchSize: 0
; MemoryBound: 0
; FloatMode: 240
; IeeeMode: 1
; LDSByteSize: 1024 bytes/workgroup (compile time only)
; SGPRBlocks: 4
; VGPRBlocks: 4
; NumSGPRsForWavesPerEU: 36
; NumVGPRsForWavesPerEU: 35
; AccumOffset: 36
; Occupancy: 8
; WaveLimiterHint : 0
; COMPUTE_PGM_RSRC2:SCRATCH_EN: 0
; COMPUTE_PGM_RSRC2:USER_SGPR: 6
; COMPUTE_PGM_RSRC2:TRAP_HANDLER: 0
; COMPUTE_PGM_RSRC2:TGID_X_EN: 1
; COMPUTE_PGM_RSRC2:TGID_Y_EN: 0
; COMPUTE_PGM_RSRC2:TGID_Z_EN: 0
; COMPUTE_PGM_RSRC2:TIDIG_COMP_CNT: 0
; COMPUTE_PGM_RSRC3_GFX90A:ACCUM_OFFSET: 8
; COMPUTE_PGM_RSRC3_GFX90A:TG_SPLIT: 0
	.section	.text._ZN9rocsparseL29bsrmmnt_small_blockdim_kernelILj64ELj8ELj2EliffffEEv20rocsparse_direction_T3_S2_llNS_24const_host_device_scalarIT7_EEPKT2_PKS2_PKT4_PKT5_llS5_PT6_ll16rocsparse_order_21rocsparse_index_base_b,"axG",@progbits,_ZN9rocsparseL29bsrmmnt_small_blockdim_kernelILj64ELj8ELj2EliffffEEv20rocsparse_direction_T3_S2_llNS_24const_host_device_scalarIT7_EEPKT2_PKS2_PKT4_PKT5_llS5_PT6_ll16rocsparse_order_21rocsparse_index_base_b,comdat
	.globl	_ZN9rocsparseL29bsrmmnt_small_blockdim_kernelILj64ELj8ELj2EliffffEEv20rocsparse_direction_T3_S2_llNS_24const_host_device_scalarIT7_EEPKT2_PKS2_PKT4_PKT5_llS5_PT6_ll16rocsparse_order_21rocsparse_index_base_b ; -- Begin function _ZN9rocsparseL29bsrmmnt_small_blockdim_kernelILj64ELj8ELj2EliffffEEv20rocsparse_direction_T3_S2_llNS_24const_host_device_scalarIT7_EEPKT2_PKS2_PKT4_PKT5_llS5_PT6_ll16rocsparse_order_21rocsparse_index_base_b
	.p2align	8
	.type	_ZN9rocsparseL29bsrmmnt_small_blockdim_kernelILj64ELj8ELj2EliffffEEv20rocsparse_direction_T3_S2_llNS_24const_host_device_scalarIT7_EEPKT2_PKS2_PKT4_PKT5_llS5_PT6_ll16rocsparse_order_21rocsparse_index_base_b,@function
_ZN9rocsparseL29bsrmmnt_small_blockdim_kernelILj64ELj8ELj2EliffffEEv20rocsparse_direction_T3_S2_llNS_24const_host_device_scalarIT7_EEPKT2_PKS2_PKT4_PKT5_llS5_PT6_ll16rocsparse_order_21rocsparse_index_base_b: ; @_ZN9rocsparseL29bsrmmnt_small_blockdim_kernelILj64ELj8ELj2EliffffEEv20rocsparse_direction_T3_S2_llNS_24const_host_device_scalarIT7_EEPKT2_PKS2_PKT4_PKT5_llS5_PT6_ll16rocsparse_order_21rocsparse_index_base_b
; %bb.0:
	s_load_dwordx4 s[16:19], s[4:5], 0x78
	s_load_dwordx2 s[28:29], s[4:5], 0x20
	s_load_dwordx2 s[30:31], s[4:5], 0x58
	s_waitcnt lgkmcnt(0)
	s_bitcmp1_b32 s18, 0
	s_cselect_b64 s[2:3], -1, 0
	s_xor_b64 s[0:1], s[2:3], -1
	s_and_b64 vcc, exec, s[2:3]
	s_cbranch_vccnz .LBB25_2
; %bb.1:
	s_load_dword s28, s[28:29], 0x0
.LBB25_2:
	s_andn2_b64 vcc, exec, s[0:1]
	s_cbranch_vccnz .LBB25_4
; %bb.3:
	s_load_dword s30, s[30:31], 0x0
.LBB25_4:
	s_waitcnt lgkmcnt(0)
	v_cmp_eq_f32_e64 s[0:1], s28, 0
	v_cmp_eq_f32_e64 s[2:3], s30, 1.0
	s_and_b64 s[0:1], s[0:1], s[2:3]
	s_and_b64 vcc, exec, s[0:1]
	s_cbranch_vccnz .LBB25_30
; %bb.5:
	s_load_dword s0, s[4:5], 0x94
	s_load_dwordx4 s[20:23], s[4:5], 0x0
	s_waitcnt lgkmcnt(0)
	s_and_b32 s0, s0, 0xffff
	s_mul_i32 s6, s6, s0
	v_add_u32_e32 v1, s6, v0
	v_lshrrev_b32_e32 v2, 4, v1
	v_cmp_gt_i32_e32 vcc, s21, v2
	s_and_saveexec_b64 s[0:1], vcc
	s_cbranch_execz .LBB25_30
; %bb.6:
	s_cmp_lt_i32 s22, 1
	s_cbranch_scc1 .LBB25_30
; %bb.7:
	s_load_dwordx8 s[8:15], s[4:5], 0x28
	v_lshlrev_b32_e32 v2, 3, v2
	v_lshrrev_b32_e32 v5, 3, v1
	v_bfe_u32 v6, v1, 3, 1
	v_mov_b32_e32 v1, 0x300
	s_waitcnt lgkmcnt(0)
	global_load_dwordx4 v[8:11], v2, s[8:9]
	s_load_dwordx4 s[24:27], s[4:5], 0x60
	s_load_dwordx2 s[6:7], s[4:5], 0x48
	v_and_b32_e32 v2, 7, v0
	v_lshrrev_b32_e32 v0, 3, v0
	s_cmp_lg_u32 s16, 1
	v_lshl_or_b32 v3, v0, 5, v1
	s_cselect_b64 s[8:9], -1, 0
	s_cmp_eq_u32 s20, 0
	v_mul_u32_u24_e32 v1, 3, v2
	s_movk_i32 s2, 0x60
	v_lshlrev_b32_e32 v1, 2, v1
	s_cselect_b64 s[0:1], -1, 0
	v_mul_u32_u24_e32 v7, 0x60, v0
	v_cndmask_b32_e64 v13, 0, 1, s[0:1]
	v_mad_u32_u24 v15, v0, s2, v1
	s_and_b64 s[0:1], s[0:1], exec
	s_waitcnt lgkmcnt(0)
	v_mad_u64_u32 v[0:1], s[0:1], v5, s26, 0
	v_mov_b32_e32 v4, v1
	v_lshlrev_b32_e32 v12, 2, v5
	v_mad_u64_u32 v[4:5], s[0:1], v5, s27, v[4:5]
	v_mov_b32_e32 v19, s25
	v_add_co_u32_e32 v16, vcc, s24, v12
	v_mov_b32_e32 v1, v4
	v_addc_co_u32_e32 v17, vcc, 0, v19, vcc
	v_lshlrev_b64 v[0:1], 2, v[0:1]
	v_add_co_u32_e32 v18, vcc, s24, v0
	v_addc_co_u32_e32 v19, vcc, v19, v1, vcc
	s_mov_b32 s23, 0
	v_cmp_neq_f32_e64 s[4:5], s30, 0
	v_lshl_or_b32 v14, v2, 2, v3
	s_cselect_b32 s16, 1, 2
	v_lshlrev_b32_e32 v6, v13, v6
	s_waitcnt vmcnt(0)
	v_subrev_co_u32_e32 v0, vcc, s17, v8
	v_subbrev_co_u32_e32 v1, vcc, 0, v9, vcc
	v_subrev_co_u32_e32 v4, vcc, s17, v10
	v_subbrev_co_u32_e32 v5, vcc, 0, v11, vcc
	v_cmp_lt_i64_e64 s[0:1], v[8:9], v[10:11]
	s_branch .LBB25_9
.LBB25_8:                               ;   in Loop: Header=BB25_9 Depth=1
	s_or_b64 exec, exec, s[2:3]
	s_add_i32 s23, s23, 8
	s_cmp_lt_i32 s23, s22
	s_cbranch_scc0 .LBB25_30
.LBB25_9:                               ; =>This Loop Header: Depth=1
                                        ;     Child Loop BB25_12 Depth 2
                                        ;       Child Loop BB25_16 Depth 3
	v_or_b32_e32 v8, s23, v2
	v_ashrrev_i32_e32 v9, 31, v8
	v_mov_b32_e32 v20, 0
	s_and_saveexec_b64 s[18:19], s[0:1]
	s_cbranch_execz .LBB25_18
; %bb.10:                               ;   in Loop: Header=BB25_9 Depth=1
	v_lshlrev_b64 v[10:11], 2, v[8:9]
	v_mov_b32_e32 v12, s15
	v_add_co_u32_e64 v21, s[2:3], s14, v10
	v_cmp_gt_i32_e32 vcc, s22, v8
	v_addc_co_u32_e64 v22, s[2:3], v12, v11, s[2:3]
	s_mov_b64 s[20:21], 0
	v_mov_b32_e32 v20, 0
	v_pk_mov_b32 v[10:11], v[0:1], v[0:1] op_sel:[0,1]
	s_branch .LBB25_12
.LBB25_11:                              ;   in Loop: Header=BB25_12 Depth=2
	s_or_b64 exec, exec, s[24:25]
	v_add_co_u32_e64 v10, s[2:3], 8, v10
	v_addc_co_u32_e64 v11, s[2:3], 0, v11, s[2:3]
	v_cmp_ge_i64_e64 s[2:3], v[10:11], v[4:5]
	s_or_b64 s[20:21], s[2:3], s[20:21]
	s_andn2_b64 exec, exec, s[20:21]
	s_cbranch_execz .LBB25_17
.LBB25_12:                              ;   Parent Loop BB25_9 Depth=1
                                        ; =>  This Loop Header: Depth=2
                                        ;       Child Loop BB25_16 Depth 3
	v_add_co_u32_e64 v12, s[2:3], v10, v2
	v_addc_co_u32_e64 v13, s[2:3], 0, v11, s[2:3]
	v_cmp_lt_i64_e64 s[2:3], v[12:13], v[4:5]
	v_mov_b32_e32 v25, 0
	v_mov_b32_e32 v23, 0
	;; [unrolled: 1-line block ×3, first 2 shown]
	s_and_saveexec_b64 s[24:25], s[2:3]
	s_cbranch_execz .LBB25_14
; %bb.13:                               ;   in Loop: Header=BB25_12 Depth=2
	v_lshlrev_b64 v[12:13], 2, v[12:13]
	v_mov_b32_e32 v23, s11
	v_add_co_u32_e64 v24, s[2:3], s10, v12
	v_addc_co_u32_e64 v25, s[2:3], v23, v13, s[2:3]
	v_or_b32_e32 v13, 0, v13
	v_or_b32_e32 v12, v12, v6
	global_load_dword v28, v[24:25], off
	v_lshlrev_b64 v[24:25], 2, v[12:13]
	v_mov_b32_e32 v23, s13
	v_add_co_u32_e64 v26, s[2:3], s12, v24
	v_or_b32_e32 v13, 0, v13
	v_or_b32_e32 v12, s16, v12
	v_addc_co_u32_e64 v27, s[2:3], v23, v25, s[2:3]
	v_lshlrev_b64 v[12:13], 2, v[12:13]
	v_add_co_u32_e64 v12, s[2:3], s12, v12
	v_addc_co_u32_e64 v13, s[2:3], v23, v13, s[2:3]
	global_load_dword v23, v[26:27], off
	global_load_dword v24, v[12:13], off
	s_waitcnt vmcnt(2)
	v_subrev_u32_e32 v12, s17, v28
	v_lshlrev_b32_e32 v25, 1, v12
.LBB25_14:                              ;   in Loop: Header=BB25_12 Depth=2
	s_or_b64 exec, exec, s[24:25]
	ds_write_b32 v14, v25
	s_waitcnt vmcnt(0)
	ds_write2_b32 v15, v23, v24 offset1:1
	s_waitcnt lgkmcnt(0)
	; wave barrier
	s_waitcnt lgkmcnt(0)
	s_and_saveexec_b64 s[24:25], vcc
	s_cbranch_execz .LBB25_11
; %bb.15:                               ;   in Loop: Header=BB25_12 Depth=2
	s_mov_b32 s29, 0
	v_mov_b32_e32 v12, v7
.LBB25_16:                              ;   Parent Loop BB25_9 Depth=1
                                        ;     Parent Loop BB25_12 Depth=2
                                        ; =>    This Inner Loop Header: Depth=3
	v_add_u32_e32 v13, s29, v3
	ds_read_b64 v[24:25], v13
	s_add_i32 s29, s29, 8
	s_cmp_lg_u32 s29, 32
	s_waitcnt lgkmcnt(0)
	v_ashrrev_i32_e32 v13, 31, v24
	v_mul_lo_u32 v23, v24, s7
	v_mad_u64_u32 v[26:27], s[2:3], v24, s6, 0
	v_mul_lo_u32 v13, v13, s6
	v_add_u32_e32 v24, 1, v24
	v_ashrrev_i32_e32 v30, 31, v25
	v_add_u32_e32 v31, 1, v25
	v_add3_u32 v27, v27, v23, v13
	v_mul_lo_u32 v32, v25, s7
	v_mad_u64_u32 v[28:29], s[2:3], v25, s6, 0
	v_ashrrev_i32_e32 v33, 31, v24
	v_mul_lo_u32 v34, v24, s7
	v_mad_u64_u32 v[24:25], s[2:3], v24, s6, 0
	v_mul_lo_u32 v35, v30, s6
	v_ashrrev_i32_e32 v36, 31, v31
	v_mul_lo_u32 v37, v31, s7
	v_mad_u64_u32 v[30:31], s[2:3], v31, s6, 0
	v_lshlrev_b64 v[26:27], 2, v[26:27]
	v_add3_u32 v29, v29, v32, v35
	v_add_co_u32_e64 v26, s[2:3], v21, v26
	v_mul_lo_u32 v13, v33, s6
	v_lshlrev_b64 v[28:29], 2, v[28:29]
	v_addc_co_u32_e64 v27, s[2:3], v22, v27, s[2:3]
	v_add3_u32 v25, v25, v34, v13
	v_add_co_u32_e64 v28, s[2:3], v21, v28
	v_mul_lo_u32 v23, v36, s6
	v_lshlrev_b64 v[24:25], 2, v[24:25]
	v_addc_co_u32_e64 v29, s[2:3], v22, v29, s[2:3]
	v_add3_u32 v31, v31, v37, v23
	v_add_co_u32_e64 v24, s[2:3], v21, v24
	v_lshlrev_b64 v[30:31], 2, v[30:31]
	v_addc_co_u32_e64 v25, s[2:3], v22, v25, s[2:3]
	v_add_co_u32_e64 v30, s[2:3], v21, v30
	v_addc_co_u32_e64 v31, s[2:3], v22, v31, s[2:3]
	global_load_dword v13, v[26:27], off
	global_load_dword v23, v[24:25], off
	global_load_dword v32, v[28:29], off
	global_load_dword v33, v[30:31], off
	ds_read_b64 v[24:25], v12
	ds_read2_b32 v[26:27], v12 offset0:3 offset1:4
	v_add_u32_e32 v12, 24, v12
	s_waitcnt vmcnt(3) lgkmcnt(1)
	v_fmac_f32_e32 v20, v24, v13
	s_waitcnt vmcnt(2)
	v_fmac_f32_e32 v20, v25, v23
	s_waitcnt vmcnt(1) lgkmcnt(0)
	v_fmac_f32_e32 v20, v26, v32
	s_waitcnt vmcnt(0)
	v_fmac_f32_e32 v20, v27, v33
	s_cbranch_scc1 .LBB25_16
	s_branch .LBB25_11
.LBB25_17:                              ;   in Loop: Header=BB25_9 Depth=1
	s_or_b64 exec, exec, s[20:21]
.LBB25_18:                              ;   in Loop: Header=BB25_9 Depth=1
	s_or_b64 exec, exec, s[18:19]
	v_cmp_gt_i32_e32 vcc, s22, v8
	s_and_saveexec_b64 s[2:3], vcc
	s_cbranch_execz .LBB25_8
; %bb.19:                               ;   in Loop: Header=BB25_9 Depth=1
	s_mov_b64 s[18:19], -1
	s_and_b64 vcc, exec, s[4:5]
	s_cbranch_vccz .LBB25_25
; %bb.20:                               ;   in Loop: Header=BB25_9 Depth=1
	s_and_b64 vcc, exec, s[8:9]
	s_cbranch_vccz .LBB25_22
; %bb.21:                               ;   in Loop: Header=BB25_9 Depth=1
	v_lshlrev_b64 v[10:11], 2, v[8:9]
	v_add_co_u32_e32 v10, vcc, v18, v10
	v_addc_co_u32_e32 v11, vcc, v19, v11, vcc
	global_load_dword v12, v[10:11], off
	v_mul_f32_e32 v13, s28, v20
	s_mov_b64 s[18:19], 0
	s_waitcnt vmcnt(0)
	v_fmac_f32_e32 v13, s30, v12
	global_store_dword v[10:11], v13, off
.LBB25_22:                              ;   in Loop: Header=BB25_9 Depth=1
	s_andn2_b64 vcc, exec, s[18:19]
	s_cbranch_vccnz .LBB25_24
; %bb.23:                               ;   in Loop: Header=BB25_9 Depth=1
	v_mul_lo_u32 v12, v9, s26
	v_mul_lo_u32 v13, v8, s27
	v_mad_u64_u32 v[10:11], s[18:19], v8, s26, 0
	v_add3_u32 v11, v11, v13, v12
	v_lshlrev_b64 v[10:11], 2, v[10:11]
	v_add_co_u32_e32 v10, vcc, v16, v10
	v_addc_co_u32_e32 v11, vcc, v17, v11, vcc
	global_load_dword v12, v[10:11], off
	v_mul_f32_e32 v13, s28, v20
	s_waitcnt vmcnt(0)
	v_fmac_f32_e32 v13, s30, v12
	global_store_dword v[10:11], v13, off
.LBB25_24:                              ;   in Loop: Header=BB25_9 Depth=1
	s_mov_b64 s[18:19], 0
.LBB25_25:                              ;   in Loop: Header=BB25_9 Depth=1
	s_andn2_b64 vcc, exec, s[18:19]
	s_cbranch_vccnz .LBB25_8
; %bb.26:                               ;   in Loop: Header=BB25_9 Depth=1
	v_mul_f32_e32 v10, s28, v20
	s_mov_b64 s[18:19], -1
	s_and_b64 vcc, exec, s[8:9]
	s_cbranch_vccz .LBB25_28
; %bb.27:                               ;   in Loop: Header=BB25_9 Depth=1
	v_lshlrev_b64 v[12:13], 2, v[8:9]
	v_add_co_u32_e32 v12, vcc, v18, v12
	v_addc_co_u32_e32 v13, vcc, v19, v13, vcc
	global_store_dword v[12:13], v10, off
	s_mov_b64 s[18:19], 0
.LBB25_28:                              ;   in Loop: Header=BB25_9 Depth=1
	s_andn2_b64 vcc, exec, s[18:19]
	s_cbranch_vccnz .LBB25_8
; %bb.29:                               ;   in Loop: Header=BB25_9 Depth=1
	v_mul_lo_u32 v11, v9, s26
	v_mul_lo_u32 v12, v8, s27
	v_mad_u64_u32 v[8:9], s[18:19], v8, s26, 0
	v_add3_u32 v9, v9, v12, v11
	v_lshlrev_b64 v[8:9], 2, v[8:9]
	v_add_co_u32_e32 v8, vcc, v16, v8
	v_addc_co_u32_e32 v9, vcc, v17, v9, vcc
	global_store_dword v[8:9], v10, off
	s_branch .LBB25_8
.LBB25_30:
	s_endpgm
	.section	.rodata,"a",@progbits
	.p2align	6, 0x0
	.amdhsa_kernel _ZN9rocsparseL29bsrmmnt_small_blockdim_kernelILj64ELj8ELj2EliffffEEv20rocsparse_direction_T3_S2_llNS_24const_host_device_scalarIT7_EEPKT2_PKS2_PKT4_PKT5_llS5_PT6_ll16rocsparse_order_21rocsparse_index_base_b
		.amdhsa_group_segment_fixed_size 1024
		.amdhsa_private_segment_fixed_size 0
		.amdhsa_kernarg_size 392
		.amdhsa_user_sgpr_count 6
		.amdhsa_user_sgpr_private_segment_buffer 1
		.amdhsa_user_sgpr_dispatch_ptr 0
		.amdhsa_user_sgpr_queue_ptr 0
		.amdhsa_user_sgpr_kernarg_segment_ptr 1
		.amdhsa_user_sgpr_dispatch_id 0
		.amdhsa_user_sgpr_flat_scratch_init 0
		.amdhsa_user_sgpr_kernarg_preload_length 0
		.amdhsa_user_sgpr_kernarg_preload_offset 0
		.amdhsa_user_sgpr_private_segment_size 0
		.amdhsa_uses_dynamic_stack 0
		.amdhsa_system_sgpr_private_segment_wavefront_offset 0
		.amdhsa_system_sgpr_workgroup_id_x 1
		.amdhsa_system_sgpr_workgroup_id_y 0
		.amdhsa_system_sgpr_workgroup_id_z 0
		.amdhsa_system_sgpr_workgroup_info 0
		.amdhsa_system_vgpr_workitem_id 0
		.amdhsa_next_free_vgpr 38
		.amdhsa_next_free_sgpr 32
		.amdhsa_accum_offset 40
		.amdhsa_reserve_vcc 1
		.amdhsa_reserve_flat_scratch 0
		.amdhsa_float_round_mode_32 0
		.amdhsa_float_round_mode_16_64 0
		.amdhsa_float_denorm_mode_32 3
		.amdhsa_float_denorm_mode_16_64 3
		.amdhsa_dx10_clamp 1
		.amdhsa_ieee_mode 1
		.amdhsa_fp16_overflow 0
		.amdhsa_tg_split 0
		.amdhsa_exception_fp_ieee_invalid_op 0
		.amdhsa_exception_fp_denorm_src 0
		.amdhsa_exception_fp_ieee_div_zero 0
		.amdhsa_exception_fp_ieee_overflow 0
		.amdhsa_exception_fp_ieee_underflow 0
		.amdhsa_exception_fp_ieee_inexact 0
		.amdhsa_exception_int_div_zero 0
	.end_amdhsa_kernel
	.section	.text._ZN9rocsparseL29bsrmmnt_small_blockdim_kernelILj64ELj8ELj2EliffffEEv20rocsparse_direction_T3_S2_llNS_24const_host_device_scalarIT7_EEPKT2_PKS2_PKT4_PKT5_llS5_PT6_ll16rocsparse_order_21rocsparse_index_base_b,"axG",@progbits,_ZN9rocsparseL29bsrmmnt_small_blockdim_kernelILj64ELj8ELj2EliffffEEv20rocsparse_direction_T3_S2_llNS_24const_host_device_scalarIT7_EEPKT2_PKS2_PKT4_PKT5_llS5_PT6_ll16rocsparse_order_21rocsparse_index_base_b,comdat
.Lfunc_end25:
	.size	_ZN9rocsparseL29bsrmmnt_small_blockdim_kernelILj64ELj8ELj2EliffffEEv20rocsparse_direction_T3_S2_llNS_24const_host_device_scalarIT7_EEPKT2_PKS2_PKT4_PKT5_llS5_PT6_ll16rocsparse_order_21rocsparse_index_base_b, .Lfunc_end25-_ZN9rocsparseL29bsrmmnt_small_blockdim_kernelILj64ELj8ELj2EliffffEEv20rocsparse_direction_T3_S2_llNS_24const_host_device_scalarIT7_EEPKT2_PKS2_PKT4_PKT5_llS5_PT6_ll16rocsparse_order_21rocsparse_index_base_b
                                        ; -- End function
	.section	.AMDGPU.csdata,"",@progbits
; Kernel info:
; codeLenInByte = 1432
; NumSgprs: 36
; NumVgprs: 38
; NumAgprs: 0
; TotalNumVgprs: 38
; ScratchSize: 0
; MemoryBound: 0
; FloatMode: 240
; IeeeMode: 1
; LDSByteSize: 1024 bytes/workgroup (compile time only)
; SGPRBlocks: 4
; VGPRBlocks: 4
; NumSGPRsForWavesPerEU: 36
; NumVGPRsForWavesPerEU: 38
; AccumOffset: 40
; Occupancy: 8
; WaveLimiterHint : 0
; COMPUTE_PGM_RSRC2:SCRATCH_EN: 0
; COMPUTE_PGM_RSRC2:USER_SGPR: 6
; COMPUTE_PGM_RSRC2:TRAP_HANDLER: 0
; COMPUTE_PGM_RSRC2:TGID_X_EN: 1
; COMPUTE_PGM_RSRC2:TGID_Y_EN: 0
; COMPUTE_PGM_RSRC2:TGID_Z_EN: 0
; COMPUTE_PGM_RSRC2:TIDIG_COMP_CNT: 0
; COMPUTE_PGM_RSRC3_GFX90A:ACCUM_OFFSET: 9
; COMPUTE_PGM_RSRC3_GFX90A:TG_SPLIT: 0
	.section	.text._ZN9rocsparseL29bsrmmnt_small_blockdim_kernelILj64ELj16ELj2EliffffEEv20rocsparse_direction_T3_S2_llNS_24const_host_device_scalarIT7_EEPKT2_PKS2_PKT4_PKT5_llS5_PT6_ll16rocsparse_order_21rocsparse_index_base_b,"axG",@progbits,_ZN9rocsparseL29bsrmmnt_small_blockdim_kernelILj64ELj16ELj2EliffffEEv20rocsparse_direction_T3_S2_llNS_24const_host_device_scalarIT7_EEPKT2_PKS2_PKT4_PKT5_llS5_PT6_ll16rocsparse_order_21rocsparse_index_base_b,comdat
	.globl	_ZN9rocsparseL29bsrmmnt_small_blockdim_kernelILj64ELj16ELj2EliffffEEv20rocsparse_direction_T3_S2_llNS_24const_host_device_scalarIT7_EEPKT2_PKS2_PKT4_PKT5_llS5_PT6_ll16rocsparse_order_21rocsparse_index_base_b ; -- Begin function _ZN9rocsparseL29bsrmmnt_small_blockdim_kernelILj64ELj16ELj2EliffffEEv20rocsparse_direction_T3_S2_llNS_24const_host_device_scalarIT7_EEPKT2_PKS2_PKT4_PKT5_llS5_PT6_ll16rocsparse_order_21rocsparse_index_base_b
	.p2align	8
	.type	_ZN9rocsparseL29bsrmmnt_small_blockdim_kernelILj64ELj16ELj2EliffffEEv20rocsparse_direction_T3_S2_llNS_24const_host_device_scalarIT7_EEPKT2_PKS2_PKT4_PKT5_llS5_PT6_ll16rocsparse_order_21rocsparse_index_base_b,@function
_ZN9rocsparseL29bsrmmnt_small_blockdim_kernelILj64ELj16ELj2EliffffEEv20rocsparse_direction_T3_S2_llNS_24const_host_device_scalarIT7_EEPKT2_PKS2_PKT4_PKT5_llS5_PT6_ll16rocsparse_order_21rocsparse_index_base_b: ; @_ZN9rocsparseL29bsrmmnt_small_blockdim_kernelILj64ELj16ELj2EliffffEEv20rocsparse_direction_T3_S2_llNS_24const_host_device_scalarIT7_EEPKT2_PKS2_PKT4_PKT5_llS5_PT6_ll16rocsparse_order_21rocsparse_index_base_b
; %bb.0:
	s_load_dwordx4 s[16:19], s[4:5], 0x78
	s_load_dwordx2 s[28:29], s[4:5], 0x20
	s_load_dwordx2 s[30:31], s[4:5], 0x58
	s_waitcnt lgkmcnt(0)
	s_bitcmp1_b32 s18, 0
	s_cselect_b64 s[2:3], -1, 0
	s_xor_b64 s[0:1], s[2:3], -1
	s_and_b64 vcc, exec, s[2:3]
	s_cbranch_vccnz .LBB26_2
; %bb.1:
	s_load_dword s28, s[28:29], 0x0
.LBB26_2:
	s_andn2_b64 vcc, exec, s[0:1]
	s_cbranch_vccnz .LBB26_4
; %bb.3:
	s_load_dword s30, s[30:31], 0x0
.LBB26_4:
	s_waitcnt lgkmcnt(0)
	v_cmp_eq_f32_e64 s[0:1], s28, 0
	v_cmp_eq_f32_e64 s[2:3], s30, 1.0
	s_and_b64 s[0:1], s[0:1], s[2:3]
	s_and_b64 vcc, exec, s[0:1]
	s_cbranch_vccnz .LBB26_30
; %bb.5:
	s_load_dword s0, s[4:5], 0x94
	s_load_dwordx4 s[20:23], s[4:5], 0x0
	s_waitcnt lgkmcnt(0)
	s_and_b32 s0, s0, 0xffff
	s_mul_i32 s6, s6, s0
	v_add_u32_e32 v1, s6, v0
	v_lshrrev_b32_e32 v2, 5, v1
	v_cmp_gt_i32_e32 vcc, s21, v2
	s_and_saveexec_b64 s[0:1], vcc
	s_cbranch_execz .LBB26_30
; %bb.6:
	s_cmp_lt_i32 s22, 1
	s_cbranch_scc1 .LBB26_30
; %bb.7:
	s_load_dwordx8 s[8:15], s[4:5], 0x28
	v_lshlrev_b32_e32 v2, 3, v2
	v_lshrrev_b32_e32 v5, 4, v1
	v_bfe_u32 v6, v1, 4, 1
	v_mov_b32_e32 v1, 0x300
	s_waitcnt lgkmcnt(0)
	global_load_dwordx4 v[8:11], v2, s[8:9]
	s_load_dwordx4 s[24:27], s[4:5], 0x60
	s_load_dwordx2 s[6:7], s[4:5], 0x48
	v_and_b32_e32 v2, 15, v0
	v_lshrrev_b32_e32 v0, 4, v0
	s_cmp_lg_u32 s16, 1
	v_lshl_or_b32 v3, v0, 6, v1
	s_cselect_b64 s[8:9], -1, 0
	s_cmp_eq_u32 s20, 0
	v_mul_u32_u24_e32 v1, 3, v2
	s_movk_i32 s2, 0xc0
	v_lshlrev_b32_e32 v1, 2, v1
	s_cselect_b64 s[0:1], -1, 0
	v_mul_u32_u24_e32 v7, 0xc0, v0
	v_cndmask_b32_e64 v13, 0, 1, s[0:1]
	v_mad_u32_u24 v15, v0, s2, v1
	s_and_b64 s[0:1], s[0:1], exec
	s_waitcnt lgkmcnt(0)
	v_mad_u64_u32 v[0:1], s[0:1], v5, s26, 0
	v_mov_b32_e32 v4, v1
	v_lshlrev_b32_e32 v12, 2, v5
	v_mad_u64_u32 v[4:5], s[0:1], v5, s27, v[4:5]
	v_mov_b32_e32 v19, s25
	v_add_co_u32_e32 v16, vcc, s24, v12
	v_mov_b32_e32 v1, v4
	v_addc_co_u32_e32 v17, vcc, 0, v19, vcc
	v_lshlrev_b64 v[0:1], 2, v[0:1]
	v_add_co_u32_e32 v18, vcc, s24, v0
	v_addc_co_u32_e32 v19, vcc, v19, v1, vcc
	s_mov_b32 s23, 0
	v_cmp_neq_f32_e64 s[4:5], s30, 0
	v_lshl_or_b32 v14, v2, 2, v3
	s_cselect_b32 s16, 1, 2
	v_lshlrev_b32_e32 v6, v13, v6
	s_waitcnt vmcnt(0)
	v_subrev_co_u32_e32 v0, vcc, s17, v8
	v_subbrev_co_u32_e32 v1, vcc, 0, v9, vcc
	v_subrev_co_u32_e32 v4, vcc, s17, v10
	v_subbrev_co_u32_e32 v5, vcc, 0, v11, vcc
	v_cmp_lt_i64_e64 s[0:1], v[8:9], v[10:11]
	s_branch .LBB26_9
.LBB26_8:                               ;   in Loop: Header=BB26_9 Depth=1
	s_or_b64 exec, exec, s[2:3]
	s_add_i32 s23, s23, 16
	s_cmp_lt_i32 s23, s22
	s_cbranch_scc0 .LBB26_30
.LBB26_9:                               ; =>This Loop Header: Depth=1
                                        ;     Child Loop BB26_12 Depth 2
                                        ;       Child Loop BB26_16 Depth 3
	v_or_b32_e32 v8, s23, v2
	v_ashrrev_i32_e32 v9, 31, v8
	v_mov_b32_e32 v20, 0
	s_and_saveexec_b64 s[18:19], s[0:1]
	s_cbranch_execz .LBB26_18
; %bb.10:                               ;   in Loop: Header=BB26_9 Depth=1
	v_lshlrev_b64 v[10:11], 2, v[8:9]
	v_mov_b32_e32 v12, s15
	v_add_co_u32_e64 v21, s[2:3], s14, v10
	v_cmp_gt_i32_e32 vcc, s22, v8
	v_addc_co_u32_e64 v22, s[2:3], v12, v11, s[2:3]
	s_mov_b64 s[20:21], 0
	v_mov_b32_e32 v20, 0
	v_pk_mov_b32 v[10:11], v[0:1], v[0:1] op_sel:[0,1]
	s_branch .LBB26_12
.LBB26_11:                              ;   in Loop: Header=BB26_12 Depth=2
	s_or_b64 exec, exec, s[24:25]
	v_add_co_u32_e64 v10, s[2:3], 16, v10
	v_addc_co_u32_e64 v11, s[2:3], 0, v11, s[2:3]
	v_cmp_ge_i64_e64 s[2:3], v[10:11], v[4:5]
	s_or_b64 s[20:21], s[2:3], s[20:21]
	s_andn2_b64 exec, exec, s[20:21]
	s_cbranch_execz .LBB26_17
.LBB26_12:                              ;   Parent Loop BB26_9 Depth=1
                                        ; =>  This Loop Header: Depth=2
                                        ;       Child Loop BB26_16 Depth 3
	v_add_co_u32_e64 v12, s[2:3], v10, v2
	v_addc_co_u32_e64 v13, s[2:3], 0, v11, s[2:3]
	v_cmp_lt_i64_e64 s[2:3], v[12:13], v[4:5]
	v_mov_b32_e32 v25, 0
	v_mov_b32_e32 v23, 0
	;; [unrolled: 1-line block ×3, first 2 shown]
	s_and_saveexec_b64 s[24:25], s[2:3]
	s_cbranch_execz .LBB26_14
; %bb.13:                               ;   in Loop: Header=BB26_12 Depth=2
	v_lshlrev_b64 v[12:13], 2, v[12:13]
	v_mov_b32_e32 v23, s11
	v_add_co_u32_e64 v24, s[2:3], s10, v12
	v_addc_co_u32_e64 v25, s[2:3], v23, v13, s[2:3]
	v_or_b32_e32 v13, 0, v13
	v_or_b32_e32 v12, v12, v6
	global_load_dword v28, v[24:25], off
	v_lshlrev_b64 v[24:25], 2, v[12:13]
	v_mov_b32_e32 v23, s13
	v_add_co_u32_e64 v26, s[2:3], s12, v24
	v_or_b32_e32 v13, 0, v13
	v_or_b32_e32 v12, s16, v12
	v_addc_co_u32_e64 v27, s[2:3], v23, v25, s[2:3]
	v_lshlrev_b64 v[12:13], 2, v[12:13]
	v_add_co_u32_e64 v12, s[2:3], s12, v12
	v_addc_co_u32_e64 v13, s[2:3], v23, v13, s[2:3]
	global_load_dword v23, v[26:27], off
	global_load_dword v24, v[12:13], off
	s_waitcnt vmcnt(2)
	v_subrev_u32_e32 v12, s17, v28
	v_lshlrev_b32_e32 v25, 1, v12
.LBB26_14:                              ;   in Loop: Header=BB26_12 Depth=2
	s_or_b64 exec, exec, s[24:25]
	ds_write_b32 v14, v25
	s_waitcnt vmcnt(0)
	ds_write2_b32 v15, v23, v24 offset1:1
	s_waitcnt lgkmcnt(0)
	; wave barrier
	s_waitcnt lgkmcnt(0)
	s_and_saveexec_b64 s[24:25], vcc
	s_cbranch_execz .LBB26_11
; %bb.15:                               ;   in Loop: Header=BB26_12 Depth=2
	s_mov_b32 s29, 0
	v_mov_b32_e32 v12, v7
.LBB26_16:                              ;   Parent Loop BB26_9 Depth=1
                                        ;     Parent Loop BB26_12 Depth=2
                                        ; =>    This Inner Loop Header: Depth=3
	v_add_u32_e32 v13, s29, v3
	ds_read_b64 v[24:25], v13
	s_add_i32 s29, s29, 8
	s_cmp_lg_u32 s29, 64
	s_waitcnt lgkmcnt(0)
	v_ashrrev_i32_e32 v13, 31, v24
	v_mul_lo_u32 v23, v24, s7
	v_mad_u64_u32 v[26:27], s[2:3], v24, s6, 0
	v_mul_lo_u32 v13, v13, s6
	v_add_u32_e32 v24, 1, v24
	v_ashrrev_i32_e32 v30, 31, v25
	v_add_u32_e32 v31, 1, v25
	v_add3_u32 v27, v27, v23, v13
	v_mul_lo_u32 v32, v25, s7
	v_mad_u64_u32 v[28:29], s[2:3], v25, s6, 0
	v_ashrrev_i32_e32 v33, 31, v24
	v_mul_lo_u32 v34, v24, s7
	v_mad_u64_u32 v[24:25], s[2:3], v24, s6, 0
	v_mul_lo_u32 v35, v30, s6
	v_ashrrev_i32_e32 v36, 31, v31
	v_mul_lo_u32 v37, v31, s7
	v_mad_u64_u32 v[30:31], s[2:3], v31, s6, 0
	v_lshlrev_b64 v[26:27], 2, v[26:27]
	v_add3_u32 v29, v29, v32, v35
	v_add_co_u32_e64 v26, s[2:3], v21, v26
	v_mul_lo_u32 v13, v33, s6
	v_lshlrev_b64 v[28:29], 2, v[28:29]
	v_addc_co_u32_e64 v27, s[2:3], v22, v27, s[2:3]
	v_add3_u32 v25, v25, v34, v13
	v_add_co_u32_e64 v28, s[2:3], v21, v28
	v_mul_lo_u32 v23, v36, s6
	v_lshlrev_b64 v[24:25], 2, v[24:25]
	v_addc_co_u32_e64 v29, s[2:3], v22, v29, s[2:3]
	v_add3_u32 v31, v31, v37, v23
	v_add_co_u32_e64 v24, s[2:3], v21, v24
	v_lshlrev_b64 v[30:31], 2, v[30:31]
	v_addc_co_u32_e64 v25, s[2:3], v22, v25, s[2:3]
	v_add_co_u32_e64 v30, s[2:3], v21, v30
	v_addc_co_u32_e64 v31, s[2:3], v22, v31, s[2:3]
	global_load_dword v13, v[26:27], off
	global_load_dword v23, v[24:25], off
	;; [unrolled: 1-line block ×4, first 2 shown]
	ds_read_b64 v[24:25], v12
	ds_read2_b32 v[26:27], v12 offset0:3 offset1:4
	v_add_u32_e32 v12, 24, v12
	s_waitcnt vmcnt(3) lgkmcnt(1)
	v_fmac_f32_e32 v20, v24, v13
	s_waitcnt vmcnt(2)
	v_fmac_f32_e32 v20, v25, v23
	s_waitcnt vmcnt(1) lgkmcnt(0)
	v_fmac_f32_e32 v20, v26, v32
	s_waitcnt vmcnt(0)
	v_fmac_f32_e32 v20, v27, v33
	s_cbranch_scc1 .LBB26_16
	s_branch .LBB26_11
.LBB26_17:                              ;   in Loop: Header=BB26_9 Depth=1
	s_or_b64 exec, exec, s[20:21]
.LBB26_18:                              ;   in Loop: Header=BB26_9 Depth=1
	s_or_b64 exec, exec, s[18:19]
	v_cmp_gt_i32_e32 vcc, s22, v8
	s_and_saveexec_b64 s[2:3], vcc
	s_cbranch_execz .LBB26_8
; %bb.19:                               ;   in Loop: Header=BB26_9 Depth=1
	s_mov_b64 s[18:19], -1
	s_and_b64 vcc, exec, s[4:5]
	s_cbranch_vccz .LBB26_25
; %bb.20:                               ;   in Loop: Header=BB26_9 Depth=1
	s_and_b64 vcc, exec, s[8:9]
	s_cbranch_vccz .LBB26_22
; %bb.21:                               ;   in Loop: Header=BB26_9 Depth=1
	v_lshlrev_b64 v[10:11], 2, v[8:9]
	v_add_co_u32_e32 v10, vcc, v18, v10
	v_addc_co_u32_e32 v11, vcc, v19, v11, vcc
	global_load_dword v12, v[10:11], off
	v_mul_f32_e32 v13, s28, v20
	s_mov_b64 s[18:19], 0
	s_waitcnt vmcnt(0)
	v_fmac_f32_e32 v13, s30, v12
	global_store_dword v[10:11], v13, off
.LBB26_22:                              ;   in Loop: Header=BB26_9 Depth=1
	s_andn2_b64 vcc, exec, s[18:19]
	s_cbranch_vccnz .LBB26_24
; %bb.23:                               ;   in Loop: Header=BB26_9 Depth=1
	v_mul_lo_u32 v12, v9, s26
	v_mul_lo_u32 v13, v8, s27
	v_mad_u64_u32 v[10:11], s[18:19], v8, s26, 0
	v_add3_u32 v11, v11, v13, v12
	v_lshlrev_b64 v[10:11], 2, v[10:11]
	v_add_co_u32_e32 v10, vcc, v16, v10
	v_addc_co_u32_e32 v11, vcc, v17, v11, vcc
	global_load_dword v12, v[10:11], off
	v_mul_f32_e32 v13, s28, v20
	s_waitcnt vmcnt(0)
	v_fmac_f32_e32 v13, s30, v12
	global_store_dword v[10:11], v13, off
.LBB26_24:                              ;   in Loop: Header=BB26_9 Depth=1
	s_mov_b64 s[18:19], 0
.LBB26_25:                              ;   in Loop: Header=BB26_9 Depth=1
	s_andn2_b64 vcc, exec, s[18:19]
	s_cbranch_vccnz .LBB26_8
; %bb.26:                               ;   in Loop: Header=BB26_9 Depth=1
	v_mul_f32_e32 v10, s28, v20
	s_mov_b64 s[18:19], -1
	s_and_b64 vcc, exec, s[8:9]
	s_cbranch_vccz .LBB26_28
; %bb.27:                               ;   in Loop: Header=BB26_9 Depth=1
	v_lshlrev_b64 v[12:13], 2, v[8:9]
	v_add_co_u32_e32 v12, vcc, v18, v12
	v_addc_co_u32_e32 v13, vcc, v19, v13, vcc
	global_store_dword v[12:13], v10, off
	s_mov_b64 s[18:19], 0
.LBB26_28:                              ;   in Loop: Header=BB26_9 Depth=1
	s_andn2_b64 vcc, exec, s[18:19]
	s_cbranch_vccnz .LBB26_8
; %bb.29:                               ;   in Loop: Header=BB26_9 Depth=1
	v_mul_lo_u32 v11, v9, s26
	v_mul_lo_u32 v12, v8, s27
	v_mad_u64_u32 v[8:9], s[18:19], v8, s26, 0
	v_add3_u32 v9, v9, v12, v11
	v_lshlrev_b64 v[8:9], 2, v[8:9]
	v_add_co_u32_e32 v8, vcc, v16, v8
	v_addc_co_u32_e32 v9, vcc, v17, v9, vcc
	global_store_dword v[8:9], v10, off
	s_branch .LBB26_8
.LBB26_30:
	s_endpgm
	.section	.rodata,"a",@progbits
	.p2align	6, 0x0
	.amdhsa_kernel _ZN9rocsparseL29bsrmmnt_small_blockdim_kernelILj64ELj16ELj2EliffffEEv20rocsparse_direction_T3_S2_llNS_24const_host_device_scalarIT7_EEPKT2_PKS2_PKT4_PKT5_llS5_PT6_ll16rocsparse_order_21rocsparse_index_base_b
		.amdhsa_group_segment_fixed_size 1024
		.amdhsa_private_segment_fixed_size 0
		.amdhsa_kernarg_size 392
		.amdhsa_user_sgpr_count 6
		.amdhsa_user_sgpr_private_segment_buffer 1
		.amdhsa_user_sgpr_dispatch_ptr 0
		.amdhsa_user_sgpr_queue_ptr 0
		.amdhsa_user_sgpr_kernarg_segment_ptr 1
		.amdhsa_user_sgpr_dispatch_id 0
		.amdhsa_user_sgpr_flat_scratch_init 0
		.amdhsa_user_sgpr_kernarg_preload_length 0
		.amdhsa_user_sgpr_kernarg_preload_offset 0
		.amdhsa_user_sgpr_private_segment_size 0
		.amdhsa_uses_dynamic_stack 0
		.amdhsa_system_sgpr_private_segment_wavefront_offset 0
		.amdhsa_system_sgpr_workgroup_id_x 1
		.amdhsa_system_sgpr_workgroup_id_y 0
		.amdhsa_system_sgpr_workgroup_id_z 0
		.amdhsa_system_sgpr_workgroup_info 0
		.amdhsa_system_vgpr_workitem_id 0
		.amdhsa_next_free_vgpr 38
		.amdhsa_next_free_sgpr 32
		.amdhsa_accum_offset 40
		.amdhsa_reserve_vcc 1
		.amdhsa_reserve_flat_scratch 0
		.amdhsa_float_round_mode_32 0
		.amdhsa_float_round_mode_16_64 0
		.amdhsa_float_denorm_mode_32 3
		.amdhsa_float_denorm_mode_16_64 3
		.amdhsa_dx10_clamp 1
		.amdhsa_ieee_mode 1
		.amdhsa_fp16_overflow 0
		.amdhsa_tg_split 0
		.amdhsa_exception_fp_ieee_invalid_op 0
		.amdhsa_exception_fp_denorm_src 0
		.amdhsa_exception_fp_ieee_div_zero 0
		.amdhsa_exception_fp_ieee_overflow 0
		.amdhsa_exception_fp_ieee_underflow 0
		.amdhsa_exception_fp_ieee_inexact 0
		.amdhsa_exception_int_div_zero 0
	.end_amdhsa_kernel
	.section	.text._ZN9rocsparseL29bsrmmnt_small_blockdim_kernelILj64ELj16ELj2EliffffEEv20rocsparse_direction_T3_S2_llNS_24const_host_device_scalarIT7_EEPKT2_PKS2_PKT4_PKT5_llS5_PT6_ll16rocsparse_order_21rocsparse_index_base_b,"axG",@progbits,_ZN9rocsparseL29bsrmmnt_small_blockdim_kernelILj64ELj16ELj2EliffffEEv20rocsparse_direction_T3_S2_llNS_24const_host_device_scalarIT7_EEPKT2_PKS2_PKT4_PKT5_llS5_PT6_ll16rocsparse_order_21rocsparse_index_base_b,comdat
.Lfunc_end26:
	.size	_ZN9rocsparseL29bsrmmnt_small_blockdim_kernelILj64ELj16ELj2EliffffEEv20rocsparse_direction_T3_S2_llNS_24const_host_device_scalarIT7_EEPKT2_PKS2_PKT4_PKT5_llS5_PT6_ll16rocsparse_order_21rocsparse_index_base_b, .Lfunc_end26-_ZN9rocsparseL29bsrmmnt_small_blockdim_kernelILj64ELj16ELj2EliffffEEv20rocsparse_direction_T3_S2_llNS_24const_host_device_scalarIT7_EEPKT2_PKS2_PKT4_PKT5_llS5_PT6_ll16rocsparse_order_21rocsparse_index_base_b
                                        ; -- End function
	.section	.AMDGPU.csdata,"",@progbits
; Kernel info:
; codeLenInByte = 1432
; NumSgprs: 36
; NumVgprs: 38
; NumAgprs: 0
; TotalNumVgprs: 38
; ScratchSize: 0
; MemoryBound: 0
; FloatMode: 240
; IeeeMode: 1
; LDSByteSize: 1024 bytes/workgroup (compile time only)
; SGPRBlocks: 4
; VGPRBlocks: 4
; NumSGPRsForWavesPerEU: 36
; NumVGPRsForWavesPerEU: 38
; AccumOffset: 40
; Occupancy: 8
; WaveLimiterHint : 0
; COMPUTE_PGM_RSRC2:SCRATCH_EN: 0
; COMPUTE_PGM_RSRC2:USER_SGPR: 6
; COMPUTE_PGM_RSRC2:TRAP_HANDLER: 0
; COMPUTE_PGM_RSRC2:TGID_X_EN: 1
; COMPUTE_PGM_RSRC2:TGID_Y_EN: 0
; COMPUTE_PGM_RSRC2:TGID_Z_EN: 0
; COMPUTE_PGM_RSRC2:TIDIG_COMP_CNT: 0
; COMPUTE_PGM_RSRC3_GFX90A:ACCUM_OFFSET: 9
; COMPUTE_PGM_RSRC3_GFX90A:TG_SPLIT: 0
	.section	.text._ZN9rocsparseL29bsrmmnt_small_blockdim_kernelILj64ELj32ELj2EliffffEEv20rocsparse_direction_T3_S2_llNS_24const_host_device_scalarIT7_EEPKT2_PKS2_PKT4_PKT5_llS5_PT6_ll16rocsparse_order_21rocsparse_index_base_b,"axG",@progbits,_ZN9rocsparseL29bsrmmnt_small_blockdim_kernelILj64ELj32ELj2EliffffEEv20rocsparse_direction_T3_S2_llNS_24const_host_device_scalarIT7_EEPKT2_PKS2_PKT4_PKT5_llS5_PT6_ll16rocsparse_order_21rocsparse_index_base_b,comdat
	.globl	_ZN9rocsparseL29bsrmmnt_small_blockdim_kernelILj64ELj32ELj2EliffffEEv20rocsparse_direction_T3_S2_llNS_24const_host_device_scalarIT7_EEPKT2_PKS2_PKT4_PKT5_llS5_PT6_ll16rocsparse_order_21rocsparse_index_base_b ; -- Begin function _ZN9rocsparseL29bsrmmnt_small_blockdim_kernelILj64ELj32ELj2EliffffEEv20rocsparse_direction_T3_S2_llNS_24const_host_device_scalarIT7_EEPKT2_PKS2_PKT4_PKT5_llS5_PT6_ll16rocsparse_order_21rocsparse_index_base_b
	.p2align	8
	.type	_ZN9rocsparseL29bsrmmnt_small_blockdim_kernelILj64ELj32ELj2EliffffEEv20rocsparse_direction_T3_S2_llNS_24const_host_device_scalarIT7_EEPKT2_PKS2_PKT4_PKT5_llS5_PT6_ll16rocsparse_order_21rocsparse_index_base_b,@function
_ZN9rocsparseL29bsrmmnt_small_blockdim_kernelILj64ELj32ELj2EliffffEEv20rocsparse_direction_T3_S2_llNS_24const_host_device_scalarIT7_EEPKT2_PKS2_PKT4_PKT5_llS5_PT6_ll16rocsparse_order_21rocsparse_index_base_b: ; @_ZN9rocsparseL29bsrmmnt_small_blockdim_kernelILj64ELj32ELj2EliffffEEv20rocsparse_direction_T3_S2_llNS_24const_host_device_scalarIT7_EEPKT2_PKS2_PKT4_PKT5_llS5_PT6_ll16rocsparse_order_21rocsparse_index_base_b
; %bb.0:
	s_load_dwordx4 s[16:19], s[4:5], 0x78
	s_load_dwordx2 s[28:29], s[4:5], 0x20
	s_load_dwordx2 s[30:31], s[4:5], 0x58
	s_waitcnt lgkmcnt(0)
	s_bitcmp1_b32 s18, 0
	s_cselect_b64 s[2:3], -1, 0
	s_xor_b64 s[0:1], s[2:3], -1
	s_and_b64 vcc, exec, s[2:3]
	s_cbranch_vccnz .LBB27_2
; %bb.1:
	s_load_dword s28, s[28:29], 0x0
.LBB27_2:
	s_andn2_b64 vcc, exec, s[0:1]
	s_cbranch_vccnz .LBB27_4
; %bb.3:
	s_load_dword s30, s[30:31], 0x0
.LBB27_4:
	s_waitcnt lgkmcnt(0)
	v_cmp_eq_f32_e64 s[0:1], s28, 0
	v_cmp_eq_f32_e64 s[2:3], s30, 1.0
	s_and_b64 s[0:1], s[0:1], s[2:3]
	s_and_b64 vcc, exec, s[0:1]
	s_cbranch_vccnz .LBB27_30
; %bb.5:
	s_load_dword s0, s[4:5], 0x94
	s_load_dwordx4 s[20:23], s[4:5], 0x0
	s_waitcnt lgkmcnt(0)
	s_and_b32 s0, s0, 0xffff
	s_mul_i32 s6, s6, s0
	v_add_u32_e32 v1, s6, v0
	v_lshrrev_b32_e32 v2, 6, v1
	v_cmp_gt_i32_e32 vcc, s21, v2
	s_and_saveexec_b64 s[0:1], vcc
	s_cbranch_execz .LBB27_30
; %bb.6:
	s_cmp_lt_i32 s22, 1
	s_cbranch_scc1 .LBB27_30
; %bb.7:
	s_load_dwordx8 s[8:15], s[4:5], 0x28
	v_lshlrev_b32_e32 v2, 3, v2
	v_lshrrev_b32_e32 v5, 5, v1
	v_bfe_u32 v6, v1, 5, 1
	v_mov_b32_e32 v1, 0x300
	s_waitcnt lgkmcnt(0)
	global_load_dwordx4 v[8:11], v2, s[8:9]
	s_load_dwordx4 s[24:27], s[4:5], 0x60
	s_load_dwordx2 s[6:7], s[4:5], 0x48
	v_and_b32_e32 v2, 31, v0
	v_lshrrev_b32_e32 v0, 5, v0
	s_cmp_lg_u32 s16, 1
	v_lshl_or_b32 v3, v0, 7, v1
	s_cselect_b64 s[8:9], -1, 0
	s_cmp_eq_u32 s20, 0
	v_mul_u32_u24_e32 v1, 3, v2
	s_movk_i32 s2, 0x180
	v_lshlrev_b32_e32 v1, 2, v1
	s_cselect_b64 s[0:1], -1, 0
	v_mul_u32_u24_e32 v7, 0x180, v0
	v_cndmask_b32_e64 v13, 0, 1, s[0:1]
	v_mad_u32_u24 v15, v0, s2, v1
	s_and_b64 s[0:1], s[0:1], exec
	s_waitcnt lgkmcnt(0)
	v_mad_u64_u32 v[0:1], s[0:1], v5, s26, 0
	v_mov_b32_e32 v4, v1
	v_lshlrev_b32_e32 v12, 2, v5
	v_mad_u64_u32 v[4:5], s[0:1], v5, s27, v[4:5]
	v_mov_b32_e32 v19, s25
	v_add_co_u32_e32 v16, vcc, s24, v12
	v_mov_b32_e32 v1, v4
	v_addc_co_u32_e32 v17, vcc, 0, v19, vcc
	v_lshlrev_b64 v[0:1], 2, v[0:1]
	v_add_co_u32_e32 v18, vcc, s24, v0
	v_addc_co_u32_e32 v19, vcc, v19, v1, vcc
	s_mov_b32 s23, 0
	v_cmp_neq_f32_e64 s[4:5], s30, 0
	v_lshl_or_b32 v14, v2, 2, v3
	s_cselect_b32 s16, 1, 2
	v_lshlrev_b32_e32 v6, v13, v6
	s_waitcnt vmcnt(0)
	v_subrev_co_u32_e32 v0, vcc, s17, v8
	v_subbrev_co_u32_e32 v1, vcc, 0, v9, vcc
	v_subrev_co_u32_e32 v4, vcc, s17, v10
	v_subbrev_co_u32_e32 v5, vcc, 0, v11, vcc
	v_cmp_lt_i64_e64 s[0:1], v[8:9], v[10:11]
	s_branch .LBB27_9
.LBB27_8:                               ;   in Loop: Header=BB27_9 Depth=1
	s_or_b64 exec, exec, s[2:3]
	s_add_i32 s23, s23, 32
	s_cmp_lt_i32 s23, s22
	s_cbranch_scc0 .LBB27_30
.LBB27_9:                               ; =>This Loop Header: Depth=1
                                        ;     Child Loop BB27_12 Depth 2
                                        ;       Child Loop BB27_16 Depth 3
	v_or_b32_e32 v8, s23, v2
	v_ashrrev_i32_e32 v9, 31, v8
	v_mov_b32_e32 v20, 0
	s_and_saveexec_b64 s[18:19], s[0:1]
	s_cbranch_execz .LBB27_18
; %bb.10:                               ;   in Loop: Header=BB27_9 Depth=1
	v_lshlrev_b64 v[10:11], 2, v[8:9]
	v_mov_b32_e32 v12, s15
	v_add_co_u32_e64 v21, s[2:3], s14, v10
	v_cmp_gt_i32_e32 vcc, s22, v8
	v_addc_co_u32_e64 v22, s[2:3], v12, v11, s[2:3]
	s_mov_b64 s[20:21], 0
	v_mov_b32_e32 v20, 0
	v_pk_mov_b32 v[10:11], v[0:1], v[0:1] op_sel:[0,1]
	s_branch .LBB27_12
.LBB27_11:                              ;   in Loop: Header=BB27_12 Depth=2
	s_or_b64 exec, exec, s[24:25]
	v_add_co_u32_e64 v10, s[2:3], 32, v10
	v_addc_co_u32_e64 v11, s[2:3], 0, v11, s[2:3]
	v_cmp_ge_i64_e64 s[2:3], v[10:11], v[4:5]
	s_or_b64 s[20:21], s[2:3], s[20:21]
	s_andn2_b64 exec, exec, s[20:21]
	s_cbranch_execz .LBB27_17
.LBB27_12:                              ;   Parent Loop BB27_9 Depth=1
                                        ; =>  This Loop Header: Depth=2
                                        ;       Child Loop BB27_16 Depth 3
	v_add_co_u32_e64 v12, s[2:3], v10, v2
	v_addc_co_u32_e64 v13, s[2:3], 0, v11, s[2:3]
	v_cmp_lt_i64_e64 s[2:3], v[12:13], v[4:5]
	v_mov_b32_e32 v25, 0
	v_mov_b32_e32 v23, 0
	;; [unrolled: 1-line block ×3, first 2 shown]
	s_and_saveexec_b64 s[24:25], s[2:3]
	s_cbranch_execz .LBB27_14
; %bb.13:                               ;   in Loop: Header=BB27_12 Depth=2
	v_lshlrev_b64 v[12:13], 2, v[12:13]
	v_mov_b32_e32 v23, s11
	v_add_co_u32_e64 v24, s[2:3], s10, v12
	v_addc_co_u32_e64 v25, s[2:3], v23, v13, s[2:3]
	v_or_b32_e32 v13, 0, v13
	v_or_b32_e32 v12, v12, v6
	global_load_dword v28, v[24:25], off
	v_lshlrev_b64 v[24:25], 2, v[12:13]
	v_mov_b32_e32 v23, s13
	v_add_co_u32_e64 v26, s[2:3], s12, v24
	v_or_b32_e32 v13, 0, v13
	v_or_b32_e32 v12, s16, v12
	v_addc_co_u32_e64 v27, s[2:3], v23, v25, s[2:3]
	v_lshlrev_b64 v[12:13], 2, v[12:13]
	v_add_co_u32_e64 v12, s[2:3], s12, v12
	v_addc_co_u32_e64 v13, s[2:3], v23, v13, s[2:3]
	global_load_dword v23, v[26:27], off
	global_load_dword v24, v[12:13], off
	s_waitcnt vmcnt(2)
	v_subrev_u32_e32 v12, s17, v28
	v_lshlrev_b32_e32 v25, 1, v12
.LBB27_14:                              ;   in Loop: Header=BB27_12 Depth=2
	s_or_b64 exec, exec, s[24:25]
	ds_write_b32 v14, v25
	s_waitcnt vmcnt(0)
	ds_write2_b32 v15, v23, v24 offset1:1
	s_waitcnt lgkmcnt(0)
	; wave barrier
	s_waitcnt lgkmcnt(0)
	s_and_saveexec_b64 s[24:25], vcc
	s_cbranch_execz .LBB27_11
; %bb.15:                               ;   in Loop: Header=BB27_12 Depth=2
	s_mov_b32 s29, 0
	v_mov_b32_e32 v12, v7
.LBB27_16:                              ;   Parent Loop BB27_9 Depth=1
                                        ;     Parent Loop BB27_12 Depth=2
                                        ; =>    This Inner Loop Header: Depth=3
	v_add_u32_e32 v13, s29, v3
	ds_read_b64 v[24:25], v13
	s_add_i32 s29, s29, 8
	s_cmpk_lg_i32 s29, 0x80
	s_waitcnt lgkmcnt(0)
	v_ashrrev_i32_e32 v13, 31, v24
	v_mul_lo_u32 v23, v24, s7
	v_mad_u64_u32 v[26:27], s[2:3], v24, s6, 0
	v_mul_lo_u32 v13, v13, s6
	v_add_u32_e32 v24, 1, v24
	v_ashrrev_i32_e32 v30, 31, v25
	v_add_u32_e32 v31, 1, v25
	v_add3_u32 v27, v27, v23, v13
	v_mul_lo_u32 v32, v25, s7
	v_mad_u64_u32 v[28:29], s[2:3], v25, s6, 0
	v_ashrrev_i32_e32 v33, 31, v24
	v_mul_lo_u32 v34, v24, s7
	v_mad_u64_u32 v[24:25], s[2:3], v24, s6, 0
	v_mul_lo_u32 v35, v30, s6
	v_ashrrev_i32_e32 v36, 31, v31
	v_mul_lo_u32 v37, v31, s7
	v_mad_u64_u32 v[30:31], s[2:3], v31, s6, 0
	v_lshlrev_b64 v[26:27], 2, v[26:27]
	v_add3_u32 v29, v29, v32, v35
	v_add_co_u32_e64 v26, s[2:3], v21, v26
	v_mul_lo_u32 v13, v33, s6
	v_lshlrev_b64 v[28:29], 2, v[28:29]
	v_addc_co_u32_e64 v27, s[2:3], v22, v27, s[2:3]
	v_add3_u32 v25, v25, v34, v13
	v_add_co_u32_e64 v28, s[2:3], v21, v28
	v_mul_lo_u32 v23, v36, s6
	v_lshlrev_b64 v[24:25], 2, v[24:25]
	v_addc_co_u32_e64 v29, s[2:3], v22, v29, s[2:3]
	v_add3_u32 v31, v31, v37, v23
	v_add_co_u32_e64 v24, s[2:3], v21, v24
	v_lshlrev_b64 v[30:31], 2, v[30:31]
	v_addc_co_u32_e64 v25, s[2:3], v22, v25, s[2:3]
	v_add_co_u32_e64 v30, s[2:3], v21, v30
	v_addc_co_u32_e64 v31, s[2:3], v22, v31, s[2:3]
	global_load_dword v13, v[26:27], off
	global_load_dword v23, v[24:25], off
	;; [unrolled: 1-line block ×4, first 2 shown]
	ds_read_b64 v[24:25], v12
	ds_read2_b32 v[26:27], v12 offset0:3 offset1:4
	v_add_u32_e32 v12, 24, v12
	s_waitcnt vmcnt(3) lgkmcnt(1)
	v_fmac_f32_e32 v20, v24, v13
	s_waitcnt vmcnt(2)
	v_fmac_f32_e32 v20, v25, v23
	s_waitcnt vmcnt(1) lgkmcnt(0)
	v_fmac_f32_e32 v20, v26, v32
	s_waitcnt vmcnt(0)
	v_fmac_f32_e32 v20, v27, v33
	s_cbranch_scc1 .LBB27_16
	s_branch .LBB27_11
.LBB27_17:                              ;   in Loop: Header=BB27_9 Depth=1
	s_or_b64 exec, exec, s[20:21]
.LBB27_18:                              ;   in Loop: Header=BB27_9 Depth=1
	s_or_b64 exec, exec, s[18:19]
	v_cmp_gt_i32_e32 vcc, s22, v8
	s_and_saveexec_b64 s[2:3], vcc
	s_cbranch_execz .LBB27_8
; %bb.19:                               ;   in Loop: Header=BB27_9 Depth=1
	s_mov_b64 s[18:19], -1
	s_and_b64 vcc, exec, s[4:5]
	s_cbranch_vccz .LBB27_25
; %bb.20:                               ;   in Loop: Header=BB27_9 Depth=1
	s_and_b64 vcc, exec, s[8:9]
	s_cbranch_vccz .LBB27_22
; %bb.21:                               ;   in Loop: Header=BB27_9 Depth=1
	v_lshlrev_b64 v[10:11], 2, v[8:9]
	v_add_co_u32_e32 v10, vcc, v18, v10
	v_addc_co_u32_e32 v11, vcc, v19, v11, vcc
	global_load_dword v12, v[10:11], off
	v_mul_f32_e32 v13, s28, v20
	s_mov_b64 s[18:19], 0
	s_waitcnt vmcnt(0)
	v_fmac_f32_e32 v13, s30, v12
	global_store_dword v[10:11], v13, off
.LBB27_22:                              ;   in Loop: Header=BB27_9 Depth=1
	s_andn2_b64 vcc, exec, s[18:19]
	s_cbranch_vccnz .LBB27_24
; %bb.23:                               ;   in Loop: Header=BB27_9 Depth=1
	v_mul_lo_u32 v12, v9, s26
	v_mul_lo_u32 v13, v8, s27
	v_mad_u64_u32 v[10:11], s[18:19], v8, s26, 0
	v_add3_u32 v11, v11, v13, v12
	v_lshlrev_b64 v[10:11], 2, v[10:11]
	v_add_co_u32_e32 v10, vcc, v16, v10
	v_addc_co_u32_e32 v11, vcc, v17, v11, vcc
	global_load_dword v12, v[10:11], off
	v_mul_f32_e32 v13, s28, v20
	s_waitcnt vmcnt(0)
	v_fmac_f32_e32 v13, s30, v12
	global_store_dword v[10:11], v13, off
.LBB27_24:                              ;   in Loop: Header=BB27_9 Depth=1
	s_mov_b64 s[18:19], 0
.LBB27_25:                              ;   in Loop: Header=BB27_9 Depth=1
	s_andn2_b64 vcc, exec, s[18:19]
	s_cbranch_vccnz .LBB27_8
; %bb.26:                               ;   in Loop: Header=BB27_9 Depth=1
	v_mul_f32_e32 v10, s28, v20
	s_mov_b64 s[18:19], -1
	s_and_b64 vcc, exec, s[8:9]
	s_cbranch_vccz .LBB27_28
; %bb.27:                               ;   in Loop: Header=BB27_9 Depth=1
	v_lshlrev_b64 v[12:13], 2, v[8:9]
	v_add_co_u32_e32 v12, vcc, v18, v12
	v_addc_co_u32_e32 v13, vcc, v19, v13, vcc
	global_store_dword v[12:13], v10, off
	s_mov_b64 s[18:19], 0
.LBB27_28:                              ;   in Loop: Header=BB27_9 Depth=1
	s_andn2_b64 vcc, exec, s[18:19]
	s_cbranch_vccnz .LBB27_8
; %bb.29:                               ;   in Loop: Header=BB27_9 Depth=1
	v_mul_lo_u32 v11, v9, s26
	v_mul_lo_u32 v12, v8, s27
	v_mad_u64_u32 v[8:9], s[18:19], v8, s26, 0
	v_add3_u32 v9, v9, v12, v11
	v_lshlrev_b64 v[8:9], 2, v[8:9]
	v_add_co_u32_e32 v8, vcc, v16, v8
	v_addc_co_u32_e32 v9, vcc, v17, v9, vcc
	global_store_dword v[8:9], v10, off
	s_branch .LBB27_8
.LBB27_30:
	s_endpgm
	.section	.rodata,"a",@progbits
	.p2align	6, 0x0
	.amdhsa_kernel _ZN9rocsparseL29bsrmmnt_small_blockdim_kernelILj64ELj32ELj2EliffffEEv20rocsparse_direction_T3_S2_llNS_24const_host_device_scalarIT7_EEPKT2_PKS2_PKT4_PKT5_llS5_PT6_ll16rocsparse_order_21rocsparse_index_base_b
		.amdhsa_group_segment_fixed_size 1024
		.amdhsa_private_segment_fixed_size 0
		.amdhsa_kernarg_size 392
		.amdhsa_user_sgpr_count 6
		.amdhsa_user_sgpr_private_segment_buffer 1
		.amdhsa_user_sgpr_dispatch_ptr 0
		.amdhsa_user_sgpr_queue_ptr 0
		.amdhsa_user_sgpr_kernarg_segment_ptr 1
		.amdhsa_user_sgpr_dispatch_id 0
		.amdhsa_user_sgpr_flat_scratch_init 0
		.amdhsa_user_sgpr_kernarg_preload_length 0
		.amdhsa_user_sgpr_kernarg_preload_offset 0
		.amdhsa_user_sgpr_private_segment_size 0
		.amdhsa_uses_dynamic_stack 0
		.amdhsa_system_sgpr_private_segment_wavefront_offset 0
		.amdhsa_system_sgpr_workgroup_id_x 1
		.amdhsa_system_sgpr_workgroup_id_y 0
		.amdhsa_system_sgpr_workgroup_id_z 0
		.amdhsa_system_sgpr_workgroup_info 0
		.amdhsa_system_vgpr_workitem_id 0
		.amdhsa_next_free_vgpr 38
		.amdhsa_next_free_sgpr 32
		.amdhsa_accum_offset 40
		.amdhsa_reserve_vcc 1
		.amdhsa_reserve_flat_scratch 0
		.amdhsa_float_round_mode_32 0
		.amdhsa_float_round_mode_16_64 0
		.amdhsa_float_denorm_mode_32 3
		.amdhsa_float_denorm_mode_16_64 3
		.amdhsa_dx10_clamp 1
		.amdhsa_ieee_mode 1
		.amdhsa_fp16_overflow 0
		.amdhsa_tg_split 0
		.amdhsa_exception_fp_ieee_invalid_op 0
		.amdhsa_exception_fp_denorm_src 0
		.amdhsa_exception_fp_ieee_div_zero 0
		.amdhsa_exception_fp_ieee_overflow 0
		.amdhsa_exception_fp_ieee_underflow 0
		.amdhsa_exception_fp_ieee_inexact 0
		.amdhsa_exception_int_div_zero 0
	.end_amdhsa_kernel
	.section	.text._ZN9rocsparseL29bsrmmnt_small_blockdim_kernelILj64ELj32ELj2EliffffEEv20rocsparse_direction_T3_S2_llNS_24const_host_device_scalarIT7_EEPKT2_PKS2_PKT4_PKT5_llS5_PT6_ll16rocsparse_order_21rocsparse_index_base_b,"axG",@progbits,_ZN9rocsparseL29bsrmmnt_small_blockdim_kernelILj64ELj32ELj2EliffffEEv20rocsparse_direction_T3_S2_llNS_24const_host_device_scalarIT7_EEPKT2_PKS2_PKT4_PKT5_llS5_PT6_ll16rocsparse_order_21rocsparse_index_base_b,comdat
.Lfunc_end27:
	.size	_ZN9rocsparseL29bsrmmnt_small_blockdim_kernelILj64ELj32ELj2EliffffEEv20rocsparse_direction_T3_S2_llNS_24const_host_device_scalarIT7_EEPKT2_PKS2_PKT4_PKT5_llS5_PT6_ll16rocsparse_order_21rocsparse_index_base_b, .Lfunc_end27-_ZN9rocsparseL29bsrmmnt_small_blockdim_kernelILj64ELj32ELj2EliffffEEv20rocsparse_direction_T3_S2_llNS_24const_host_device_scalarIT7_EEPKT2_PKS2_PKT4_PKT5_llS5_PT6_ll16rocsparse_order_21rocsparse_index_base_b
                                        ; -- End function
	.section	.AMDGPU.csdata,"",@progbits
; Kernel info:
; codeLenInByte = 1432
; NumSgprs: 36
; NumVgprs: 38
; NumAgprs: 0
; TotalNumVgprs: 38
; ScratchSize: 0
; MemoryBound: 0
; FloatMode: 240
; IeeeMode: 1
; LDSByteSize: 1024 bytes/workgroup (compile time only)
; SGPRBlocks: 4
; VGPRBlocks: 4
; NumSGPRsForWavesPerEU: 36
; NumVGPRsForWavesPerEU: 38
; AccumOffset: 40
; Occupancy: 8
; WaveLimiterHint : 0
; COMPUTE_PGM_RSRC2:SCRATCH_EN: 0
; COMPUTE_PGM_RSRC2:USER_SGPR: 6
; COMPUTE_PGM_RSRC2:TRAP_HANDLER: 0
; COMPUTE_PGM_RSRC2:TGID_X_EN: 1
; COMPUTE_PGM_RSRC2:TGID_Y_EN: 0
; COMPUTE_PGM_RSRC2:TGID_Z_EN: 0
; COMPUTE_PGM_RSRC2:TIDIG_COMP_CNT: 0
; COMPUTE_PGM_RSRC3_GFX90A:ACCUM_OFFSET: 9
; COMPUTE_PGM_RSRC3_GFX90A:TG_SPLIT: 0
	.section	.text._ZN9rocsparseL29bsrmmnt_small_blockdim_kernelILj64ELj64ELj2EliffffEEv20rocsparse_direction_T3_S2_llNS_24const_host_device_scalarIT7_EEPKT2_PKS2_PKT4_PKT5_llS5_PT6_ll16rocsparse_order_21rocsparse_index_base_b,"axG",@progbits,_ZN9rocsparseL29bsrmmnt_small_blockdim_kernelILj64ELj64ELj2EliffffEEv20rocsparse_direction_T3_S2_llNS_24const_host_device_scalarIT7_EEPKT2_PKS2_PKT4_PKT5_llS5_PT6_ll16rocsparse_order_21rocsparse_index_base_b,comdat
	.globl	_ZN9rocsparseL29bsrmmnt_small_blockdim_kernelILj64ELj64ELj2EliffffEEv20rocsparse_direction_T3_S2_llNS_24const_host_device_scalarIT7_EEPKT2_PKS2_PKT4_PKT5_llS5_PT6_ll16rocsparse_order_21rocsparse_index_base_b ; -- Begin function _ZN9rocsparseL29bsrmmnt_small_blockdim_kernelILj64ELj64ELj2EliffffEEv20rocsparse_direction_T3_S2_llNS_24const_host_device_scalarIT7_EEPKT2_PKS2_PKT4_PKT5_llS5_PT6_ll16rocsparse_order_21rocsparse_index_base_b
	.p2align	8
	.type	_ZN9rocsparseL29bsrmmnt_small_blockdim_kernelILj64ELj64ELj2EliffffEEv20rocsparse_direction_T3_S2_llNS_24const_host_device_scalarIT7_EEPKT2_PKS2_PKT4_PKT5_llS5_PT6_ll16rocsparse_order_21rocsparse_index_base_b,@function
_ZN9rocsparseL29bsrmmnt_small_blockdim_kernelILj64ELj64ELj2EliffffEEv20rocsparse_direction_T3_S2_llNS_24const_host_device_scalarIT7_EEPKT2_PKS2_PKT4_PKT5_llS5_PT6_ll16rocsparse_order_21rocsparse_index_base_b: ; @_ZN9rocsparseL29bsrmmnt_small_blockdim_kernelILj64ELj64ELj2EliffffEEv20rocsparse_direction_T3_S2_llNS_24const_host_device_scalarIT7_EEPKT2_PKS2_PKT4_PKT5_llS5_PT6_ll16rocsparse_order_21rocsparse_index_base_b
; %bb.0:
	s_load_dwordx4 s[16:19], s[4:5], 0x78
	s_load_dwordx2 s[28:29], s[4:5], 0x20
	s_load_dwordx2 s[30:31], s[4:5], 0x58
	s_waitcnt lgkmcnt(0)
	s_bitcmp1_b32 s18, 0
	s_cselect_b64 s[2:3], -1, 0
	s_xor_b64 s[0:1], s[2:3], -1
	s_and_b64 vcc, exec, s[2:3]
	s_cbranch_vccnz .LBB28_2
; %bb.1:
	s_load_dword s28, s[28:29], 0x0
.LBB28_2:
	s_andn2_b64 vcc, exec, s[0:1]
	s_cbranch_vccnz .LBB28_4
; %bb.3:
	s_load_dword s30, s[30:31], 0x0
.LBB28_4:
	s_waitcnt lgkmcnt(0)
	v_cmp_eq_f32_e64 s[0:1], s28, 0
	v_cmp_eq_f32_e64 s[2:3], s30, 1.0
	s_and_b64 s[0:1], s[0:1], s[2:3]
	s_and_b64 vcc, exec, s[0:1]
	s_cbranch_vccnz .LBB28_30
; %bb.5:
	s_load_dword s0, s[4:5], 0x94
	s_load_dwordx4 s[20:23], s[4:5], 0x0
	s_waitcnt lgkmcnt(0)
	s_and_b32 s0, s0, 0xffff
	s_mul_i32 s6, s6, s0
	v_add_u32_e32 v1, s6, v0
	v_lshrrev_b32_e32 v2, 7, v1
	v_cmp_gt_i32_e32 vcc, s21, v2
	s_and_saveexec_b64 s[0:1], vcc
	s_cbranch_execz .LBB28_30
; %bb.6:
	s_cmp_lt_i32 s22, 1
	s_cbranch_scc1 .LBB28_30
; %bb.7:
	s_load_dwordx8 s[8:15], s[4:5], 0x28
	v_lshlrev_b32_e32 v2, 3, v2
	s_cmp_lg_u32 s16, 1
	v_lshrrev_b32_e32 v5, 6, v1
	v_lshlrev_b32_e32 v12, 2, v5
	s_waitcnt lgkmcnt(0)
	global_load_dwordx4 v[8:11], v2, s[8:9]
	s_load_dwordx4 s[24:27], s[4:5], 0x60
	s_load_dwordx2 s[6:7], s[4:5], 0x48
	s_cselect_b64 s[8:9], -1, 0
	s_cmp_eq_u32 s20, 0
	v_mul_u32_u24_e32 v2, 3, v0
	s_cselect_b64 s[0:1], -1, 0
	v_lshlrev_b32_e32 v14, 2, v2
	v_cndmask_b32_e64 v13, 0, 1, s[0:1]
	s_and_b64 s[0:1], s[0:1], exec
	s_waitcnt lgkmcnt(0)
	v_mad_u64_u32 v[2:3], s[0:1], v5, s26, 0
	v_mov_b32_e32 v4, v3
	v_mad_u64_u32 v[4:5], s[0:1], v5, s27, v[4:5]
	v_mov_b32_e32 v18, s25
	v_add_co_u32_e32 v15, vcc, s24, v12
	v_mov_b32_e32 v3, v4
	v_addc_co_u32_e32 v16, vcc, 0, v18, vcc
	v_lshlrev_b64 v[2:3], 2, v[2:3]
	v_add_co_u32_e32 v17, vcc, s24, v2
	v_addc_co_u32_e32 v18, vcc, v18, v3, vcc
	v_bfe_u32 v6, v1, 6, 1
	v_mov_b32_e32 v1, 0x300
	s_mov_b32 s23, 0
	v_cmp_neq_f32_e64 s[4:5], s30, 0
	v_lshl_or_b32 v7, v0, 2, v1
	s_cselect_b32 s16, 1, 2
	v_lshlrev_b32_e32 v6, v13, v6
	s_waitcnt vmcnt(0)
	v_subrev_co_u32_e32 v2, vcc, s17, v8
	v_subbrev_co_u32_e32 v3, vcc, 0, v9, vcc
	v_subrev_co_u32_e32 v4, vcc, s17, v10
	v_subbrev_co_u32_e32 v5, vcc, 0, v11, vcc
	v_cmp_lt_i64_e64 s[0:1], v[8:9], v[10:11]
	s_branch .LBB28_9
.LBB28_8:                               ;   in Loop: Header=BB28_9 Depth=1
	s_or_b64 exec, exec, s[2:3]
	s_add_i32 s23, s23, 64
	s_cmp_lt_i32 s23, s22
	s_cbranch_scc0 .LBB28_30
.LBB28_9:                               ; =>This Loop Header: Depth=1
                                        ;     Child Loop BB28_12 Depth 2
                                        ;       Child Loop BB28_16 Depth 3
	v_or_b32_e32 v8, s23, v0
	v_mov_b32_e32 v19, 0
	v_ashrrev_i32_e32 v9, 31, v8
	s_and_saveexec_b64 s[18:19], s[0:1]
	s_cbranch_execz .LBB28_18
; %bb.10:                               ;   in Loop: Header=BB28_9 Depth=1
	v_lshlrev_b64 v[10:11], 2, v[8:9]
	v_mov_b32_e32 v12, s15
	v_add_co_u32_e64 v20, s[2:3], s14, v10
	v_cmp_gt_i32_e32 vcc, s22, v8
	v_addc_co_u32_e64 v21, s[2:3], v12, v11, s[2:3]
	s_mov_b64 s[20:21], 0
	v_mov_b32_e32 v19, 0
	v_pk_mov_b32 v[10:11], v[2:3], v[2:3] op_sel:[0,1]
	s_branch .LBB28_12
.LBB28_11:                              ;   in Loop: Header=BB28_12 Depth=2
	s_or_b64 exec, exec, s[24:25]
	v_add_co_u32_e64 v10, s[2:3], 64, v10
	v_addc_co_u32_e64 v11, s[2:3], 0, v11, s[2:3]
	v_cmp_ge_i64_e64 s[2:3], v[10:11], v[4:5]
	s_or_b64 s[20:21], s[2:3], s[20:21]
	s_andn2_b64 exec, exec, s[20:21]
	s_cbranch_execz .LBB28_17
.LBB28_12:                              ;   Parent Loop BB28_9 Depth=1
                                        ; =>  This Loop Header: Depth=2
                                        ;       Child Loop BB28_16 Depth 3
	v_add_co_u32_e64 v12, s[2:3], v10, v0
	v_addc_co_u32_e64 v13, s[2:3], 0, v11, s[2:3]
	v_cmp_lt_i64_e64 s[2:3], v[12:13], v[4:5]
	v_mov_b32_e32 v24, 0
	v_mov_b32_e32 v22, 0
	;; [unrolled: 1-line block ×3, first 2 shown]
	s_and_saveexec_b64 s[24:25], s[2:3]
	s_cbranch_execz .LBB28_14
; %bb.13:                               ;   in Loop: Header=BB28_12 Depth=2
	v_lshlrev_b64 v[12:13], 2, v[12:13]
	v_mov_b32_e32 v23, s11
	v_add_co_u32_e64 v22, s[2:3], s10, v12
	v_addc_co_u32_e64 v23, s[2:3], v23, v13, s[2:3]
	v_or_b32_e32 v13, 0, v13
	v_or_b32_e32 v12, v12, v6
	global_load_dword v26, v[22:23], off
	v_lshlrev_b64 v[22:23], 2, v[12:13]
	v_mov_b32_e32 v27, s13
	v_add_co_u32_e64 v24, s[2:3], s12, v22
	v_or_b32_e32 v13, 0, v13
	v_or_b32_e32 v12, s16, v12
	v_addc_co_u32_e64 v25, s[2:3], v27, v23, s[2:3]
	v_lshlrev_b64 v[12:13], 2, v[12:13]
	v_add_co_u32_e64 v12, s[2:3], s12, v12
	v_addc_co_u32_e64 v13, s[2:3], v27, v13, s[2:3]
	global_load_dword v22, v[24:25], off
	global_load_dword v23, v[12:13], off
	s_waitcnt vmcnt(2)
	v_subrev_u32_e32 v12, s17, v26
	v_lshlrev_b32_e32 v24, 1, v12
.LBB28_14:                              ;   in Loop: Header=BB28_12 Depth=2
	s_or_b64 exec, exec, s[24:25]
	ds_write_b32 v7, v24
	s_waitcnt vmcnt(0)
	ds_write2_b32 v14, v22, v23 offset1:1
	s_waitcnt lgkmcnt(0)
	; wave barrier
	s_waitcnt lgkmcnt(0)
	s_and_saveexec_b64 s[24:25], vcc
	s_cbranch_execz .LBB28_11
; %bb.15:                               ;   in Loop: Header=BB28_12 Depth=2
	s_mov_b32 s29, 0
	v_mov_b32_e32 v12, 0
.LBB28_16:                              ;   Parent Loop BB28_9 Depth=1
                                        ;     Parent Loop BB28_12 Depth=2
                                        ; =>    This Inner Loop Header: Depth=3
	v_add_u32_e32 v13, s29, v1
	ds_read_b64 v[22:23], v13
	s_add_i32 s29, s29, 8
	s_cmpk_lg_i32 s29, 0x100
	s_waitcnt lgkmcnt(0)
	v_ashrrev_i32_e32 v13, 31, v22
	v_mul_lo_u32 v30, v22, s7
	v_mad_u64_u32 v[24:25], s[2:3], v22, s6, 0
	v_mul_lo_u32 v13, v13, s6
	v_add_u32_e32 v22, 1, v22
	v_ashrrev_i32_e32 v28, 31, v23
	v_add_u32_e32 v29, 1, v23
	v_add3_u32 v25, v25, v30, v13
	v_mul_lo_u32 v31, v23, s7
	v_mad_u64_u32 v[26:27], s[2:3], v23, s6, 0
	v_ashrrev_i32_e32 v32, 31, v22
	v_mul_lo_u32 v33, v22, s7
	v_mad_u64_u32 v[22:23], s[2:3], v22, s6, 0
	v_mul_lo_u32 v34, v28, s6
	v_ashrrev_i32_e32 v35, 31, v29
	v_mul_lo_u32 v36, v29, s7
	v_mad_u64_u32 v[28:29], s[2:3], v29, s6, 0
	v_lshlrev_b64 v[24:25], 2, v[24:25]
	v_add3_u32 v27, v27, v31, v34
	v_add_co_u32_e64 v24, s[2:3], v20, v24
	v_mul_lo_u32 v13, v32, s6
	v_lshlrev_b64 v[26:27], 2, v[26:27]
	v_addc_co_u32_e64 v25, s[2:3], v21, v25, s[2:3]
	v_add3_u32 v23, v23, v33, v13
	v_add_co_u32_e64 v26, s[2:3], v20, v26
	v_mul_lo_u32 v30, v35, s6
	v_lshlrev_b64 v[22:23], 2, v[22:23]
	v_addc_co_u32_e64 v27, s[2:3], v21, v27, s[2:3]
	v_add3_u32 v29, v29, v36, v30
	v_add_co_u32_e64 v22, s[2:3], v20, v22
	v_lshlrev_b64 v[28:29], 2, v[28:29]
	v_addc_co_u32_e64 v23, s[2:3], v21, v23, s[2:3]
	v_add_co_u32_e64 v28, s[2:3], v20, v28
	v_addc_co_u32_e64 v29, s[2:3], v21, v29, s[2:3]
	global_load_dword v13, v[24:25], off
	global_load_dword v30, v[22:23], off
	global_load_dword v31, v[26:27], off
	global_load_dword v32, v[28:29], off
	ds_read_b64 v[22:23], v12
	ds_read2_b32 v[24:25], v12 offset0:3 offset1:4
	v_add_u32_e32 v12, 24, v12
	s_waitcnt vmcnt(3) lgkmcnt(1)
	v_fmac_f32_e32 v19, v22, v13
	s_waitcnt vmcnt(2)
	v_fmac_f32_e32 v19, v23, v30
	s_waitcnt vmcnt(1) lgkmcnt(0)
	v_fmac_f32_e32 v19, v24, v31
	s_waitcnt vmcnt(0)
	v_fmac_f32_e32 v19, v25, v32
	s_cbranch_scc1 .LBB28_16
	s_branch .LBB28_11
.LBB28_17:                              ;   in Loop: Header=BB28_9 Depth=1
	s_or_b64 exec, exec, s[20:21]
.LBB28_18:                              ;   in Loop: Header=BB28_9 Depth=1
	s_or_b64 exec, exec, s[18:19]
	v_cmp_gt_i32_e32 vcc, s22, v8
	s_and_saveexec_b64 s[2:3], vcc
	s_cbranch_execz .LBB28_8
; %bb.19:                               ;   in Loop: Header=BB28_9 Depth=1
	s_mov_b64 s[18:19], -1
	s_and_b64 vcc, exec, s[4:5]
	s_cbranch_vccz .LBB28_25
; %bb.20:                               ;   in Loop: Header=BB28_9 Depth=1
	s_and_b64 vcc, exec, s[8:9]
	s_cbranch_vccz .LBB28_22
; %bb.21:                               ;   in Loop: Header=BB28_9 Depth=1
	v_lshlrev_b64 v[10:11], 2, v[8:9]
	v_add_co_u32_e32 v10, vcc, v17, v10
	v_addc_co_u32_e32 v11, vcc, v18, v11, vcc
	global_load_dword v12, v[10:11], off
	v_mul_f32_e32 v13, s28, v19
	s_mov_b64 s[18:19], 0
	s_waitcnt vmcnt(0)
	v_fmac_f32_e32 v13, s30, v12
	global_store_dword v[10:11], v13, off
.LBB28_22:                              ;   in Loop: Header=BB28_9 Depth=1
	s_andn2_b64 vcc, exec, s[18:19]
	s_cbranch_vccnz .LBB28_24
; %bb.23:                               ;   in Loop: Header=BB28_9 Depth=1
	v_mul_lo_u32 v12, v9, s26
	v_mul_lo_u32 v13, v8, s27
	v_mad_u64_u32 v[10:11], s[18:19], v8, s26, 0
	v_add3_u32 v11, v11, v13, v12
	v_lshlrev_b64 v[10:11], 2, v[10:11]
	v_add_co_u32_e32 v10, vcc, v15, v10
	v_addc_co_u32_e32 v11, vcc, v16, v11, vcc
	global_load_dword v12, v[10:11], off
	v_mul_f32_e32 v13, s28, v19
	s_waitcnt vmcnt(0)
	v_fmac_f32_e32 v13, s30, v12
	global_store_dword v[10:11], v13, off
.LBB28_24:                              ;   in Loop: Header=BB28_9 Depth=1
	s_mov_b64 s[18:19], 0
.LBB28_25:                              ;   in Loop: Header=BB28_9 Depth=1
	s_andn2_b64 vcc, exec, s[18:19]
	s_cbranch_vccnz .LBB28_8
; %bb.26:                               ;   in Loop: Header=BB28_9 Depth=1
	v_mul_f32_e32 v10, s28, v19
	s_mov_b64 s[18:19], -1
	s_and_b64 vcc, exec, s[8:9]
	s_cbranch_vccz .LBB28_28
; %bb.27:                               ;   in Loop: Header=BB28_9 Depth=1
	v_lshlrev_b64 v[12:13], 2, v[8:9]
	v_add_co_u32_e32 v12, vcc, v17, v12
	v_addc_co_u32_e32 v13, vcc, v18, v13, vcc
	global_store_dword v[12:13], v10, off
	s_mov_b64 s[18:19], 0
.LBB28_28:                              ;   in Loop: Header=BB28_9 Depth=1
	s_andn2_b64 vcc, exec, s[18:19]
	s_cbranch_vccnz .LBB28_8
; %bb.29:                               ;   in Loop: Header=BB28_9 Depth=1
	v_mul_lo_u32 v11, v9, s26
	v_mul_lo_u32 v12, v8, s27
	v_mad_u64_u32 v[8:9], s[18:19], v8, s26, 0
	v_add3_u32 v9, v9, v12, v11
	v_lshlrev_b64 v[8:9], 2, v[8:9]
	v_add_co_u32_e32 v8, vcc, v15, v8
	v_addc_co_u32_e32 v9, vcc, v16, v9, vcc
	global_store_dword v[8:9], v10, off
	s_branch .LBB28_8
.LBB28_30:
	s_endpgm
	.section	.rodata,"a",@progbits
	.p2align	6, 0x0
	.amdhsa_kernel _ZN9rocsparseL29bsrmmnt_small_blockdim_kernelILj64ELj64ELj2EliffffEEv20rocsparse_direction_T3_S2_llNS_24const_host_device_scalarIT7_EEPKT2_PKS2_PKT4_PKT5_llS5_PT6_ll16rocsparse_order_21rocsparse_index_base_b
		.amdhsa_group_segment_fixed_size 1024
		.amdhsa_private_segment_fixed_size 0
		.amdhsa_kernarg_size 392
		.amdhsa_user_sgpr_count 6
		.amdhsa_user_sgpr_private_segment_buffer 1
		.amdhsa_user_sgpr_dispatch_ptr 0
		.amdhsa_user_sgpr_queue_ptr 0
		.amdhsa_user_sgpr_kernarg_segment_ptr 1
		.amdhsa_user_sgpr_dispatch_id 0
		.amdhsa_user_sgpr_flat_scratch_init 0
		.amdhsa_user_sgpr_kernarg_preload_length 0
		.amdhsa_user_sgpr_kernarg_preload_offset 0
		.amdhsa_user_sgpr_private_segment_size 0
		.amdhsa_uses_dynamic_stack 0
		.amdhsa_system_sgpr_private_segment_wavefront_offset 0
		.amdhsa_system_sgpr_workgroup_id_x 1
		.amdhsa_system_sgpr_workgroup_id_y 0
		.amdhsa_system_sgpr_workgroup_id_z 0
		.amdhsa_system_sgpr_workgroup_info 0
		.amdhsa_system_vgpr_workitem_id 0
		.amdhsa_next_free_vgpr 37
		.amdhsa_next_free_sgpr 32
		.amdhsa_accum_offset 40
		.amdhsa_reserve_vcc 1
		.amdhsa_reserve_flat_scratch 0
		.amdhsa_float_round_mode_32 0
		.amdhsa_float_round_mode_16_64 0
		.amdhsa_float_denorm_mode_32 3
		.amdhsa_float_denorm_mode_16_64 3
		.amdhsa_dx10_clamp 1
		.amdhsa_ieee_mode 1
		.amdhsa_fp16_overflow 0
		.amdhsa_tg_split 0
		.amdhsa_exception_fp_ieee_invalid_op 0
		.amdhsa_exception_fp_denorm_src 0
		.amdhsa_exception_fp_ieee_div_zero 0
		.amdhsa_exception_fp_ieee_overflow 0
		.amdhsa_exception_fp_ieee_underflow 0
		.amdhsa_exception_fp_ieee_inexact 0
		.amdhsa_exception_int_div_zero 0
	.end_amdhsa_kernel
	.section	.text._ZN9rocsparseL29bsrmmnt_small_blockdim_kernelILj64ELj64ELj2EliffffEEv20rocsparse_direction_T3_S2_llNS_24const_host_device_scalarIT7_EEPKT2_PKS2_PKT4_PKT5_llS5_PT6_ll16rocsparse_order_21rocsparse_index_base_b,"axG",@progbits,_ZN9rocsparseL29bsrmmnt_small_blockdim_kernelILj64ELj64ELj2EliffffEEv20rocsparse_direction_T3_S2_llNS_24const_host_device_scalarIT7_EEPKT2_PKS2_PKT4_PKT5_llS5_PT6_ll16rocsparse_order_21rocsparse_index_base_b,comdat
.Lfunc_end28:
	.size	_ZN9rocsparseL29bsrmmnt_small_blockdim_kernelILj64ELj64ELj2EliffffEEv20rocsparse_direction_T3_S2_llNS_24const_host_device_scalarIT7_EEPKT2_PKS2_PKT4_PKT5_llS5_PT6_ll16rocsparse_order_21rocsparse_index_base_b, .Lfunc_end28-_ZN9rocsparseL29bsrmmnt_small_blockdim_kernelILj64ELj64ELj2EliffffEEv20rocsparse_direction_T3_S2_llNS_24const_host_device_scalarIT7_EEPKT2_PKS2_PKT4_PKT5_llS5_PT6_ll16rocsparse_order_21rocsparse_index_base_b
                                        ; -- End function
	.section	.AMDGPU.csdata,"",@progbits
; Kernel info:
; codeLenInByte = 1396
; NumSgprs: 36
; NumVgprs: 37
; NumAgprs: 0
; TotalNumVgprs: 37
; ScratchSize: 0
; MemoryBound: 0
; FloatMode: 240
; IeeeMode: 1
; LDSByteSize: 1024 bytes/workgroup (compile time only)
; SGPRBlocks: 4
; VGPRBlocks: 4
; NumSGPRsForWavesPerEU: 36
; NumVGPRsForWavesPerEU: 37
; AccumOffset: 40
; Occupancy: 8
; WaveLimiterHint : 0
; COMPUTE_PGM_RSRC2:SCRATCH_EN: 0
; COMPUTE_PGM_RSRC2:USER_SGPR: 6
; COMPUTE_PGM_RSRC2:TRAP_HANDLER: 0
; COMPUTE_PGM_RSRC2:TGID_X_EN: 1
; COMPUTE_PGM_RSRC2:TGID_Y_EN: 0
; COMPUTE_PGM_RSRC2:TGID_Z_EN: 0
; COMPUTE_PGM_RSRC2:TIDIG_COMP_CNT: 0
; COMPUTE_PGM_RSRC3_GFX90A:ACCUM_OFFSET: 9
; COMPUTE_PGM_RSRC3_GFX90A:TG_SPLIT: 0
	.section	.text._ZN9rocsparseL29bsrmmnt_small_blockdim_kernelILj64ELj8ELj2EllffffEEv20rocsparse_direction_T3_S2_llNS_24const_host_device_scalarIT7_EEPKT2_PKS2_PKT4_PKT5_llS5_PT6_ll16rocsparse_order_21rocsparse_index_base_b,"axG",@progbits,_ZN9rocsparseL29bsrmmnt_small_blockdim_kernelILj64ELj8ELj2EllffffEEv20rocsparse_direction_T3_S2_llNS_24const_host_device_scalarIT7_EEPKT2_PKS2_PKT4_PKT5_llS5_PT6_ll16rocsparse_order_21rocsparse_index_base_b,comdat
	.globl	_ZN9rocsparseL29bsrmmnt_small_blockdim_kernelILj64ELj8ELj2EllffffEEv20rocsparse_direction_T3_S2_llNS_24const_host_device_scalarIT7_EEPKT2_PKS2_PKT4_PKT5_llS5_PT6_ll16rocsparse_order_21rocsparse_index_base_b ; -- Begin function _ZN9rocsparseL29bsrmmnt_small_blockdim_kernelILj64ELj8ELj2EllffffEEv20rocsparse_direction_T3_S2_llNS_24const_host_device_scalarIT7_EEPKT2_PKS2_PKT4_PKT5_llS5_PT6_ll16rocsparse_order_21rocsparse_index_base_b
	.p2align	8
	.type	_ZN9rocsparseL29bsrmmnt_small_blockdim_kernelILj64ELj8ELj2EllffffEEv20rocsparse_direction_T3_S2_llNS_24const_host_device_scalarIT7_EEPKT2_PKS2_PKT4_PKT5_llS5_PT6_ll16rocsparse_order_21rocsparse_index_base_b,@function
_ZN9rocsparseL29bsrmmnt_small_blockdim_kernelILj64ELj8ELj2EllffffEEv20rocsparse_direction_T3_S2_llNS_24const_host_device_scalarIT7_EEPKT2_PKS2_PKT4_PKT5_llS5_PT6_ll16rocsparse_order_21rocsparse_index_base_b: ; @_ZN9rocsparseL29bsrmmnt_small_blockdim_kernelILj64ELj8ELj2EllffffEEv20rocsparse_direction_T3_S2_llNS_24const_host_device_scalarIT7_EEPKT2_PKS2_PKT4_PKT5_llS5_PT6_ll16rocsparse_order_21rocsparse_index_base_b
; %bb.0:
	s_load_dwordx4 s[0:3], s[4:5], 0x80
	s_load_dwordx2 s[24:25], s[4:5], 0x28
	s_load_dwordx2 s[26:27], s[4:5], 0x60
	s_waitcnt lgkmcnt(0)
	s_bitcmp1_b32 s2, 0
	s_cselect_b64 s[8:9], -1, 0
	s_xor_b64 s[2:3], s[8:9], -1
	s_and_b64 vcc, exec, s[8:9]
	s_cbranch_vccnz .LBB29_2
; %bb.1:
	s_load_dword s24, s[24:25], 0x0
.LBB29_2:
	s_andn2_b64 vcc, exec, s[2:3]
	s_cbranch_vccnz .LBB29_4
; %bb.3:
	s_load_dword s26, s[26:27], 0x0
.LBB29_4:
	s_waitcnt lgkmcnt(0)
	v_cmp_eq_f32_e64 s[2:3], s24, 0
	v_cmp_eq_f32_e64 s[8:9], s26, 1.0
	s_and_b64 s[2:3], s[2:3], s[8:9]
	s_and_b64 vcc, exec, s[2:3]
	s_cbranch_vccnz .LBB29_30
; %bb.5:
	s_load_dword s2, s[4:5], 0x9c
	s_load_dwordx4 s[16:19], s[4:5], 0x8
	v_mov_b32_e32 v3, 0
	s_waitcnt lgkmcnt(0)
	s_and_b32 s2, s2, 0xffff
	s_mul_i32 s6, s6, s2
	v_add_u32_e32 v1, s6, v0
	v_lshrrev_b32_e32 v2, 4, v1
	v_cmp_gt_i64_e32 vcc, s[16:17], v[2:3]
	s_and_saveexec_b64 s[2:3], vcc
	s_cbranch_execz .LBB29_30
; %bb.6:
	v_cmp_lt_i64_e64 s[2:3], s[18:19], 1
	s_and_b64 vcc, exec, s[2:3]
	s_cbranch_vccnz .LBB29_30
; %bb.7:
	s_load_dwordx8 s[8:15], s[4:5], 0x30
	v_lshlrev_b32_e32 v2, 3, v2
	v_lshrrev_b32_e32 v12, 3, v1
	v_bfe_u32 v4, v1, 3, 1
	v_mov_b32_e32 v1, 0x300
	s_waitcnt lgkmcnt(0)
	global_load_dwordx4 v[8:11], v2, s[8:9]
	s_load_dword s2, s[4:5], 0x0
	s_load_dwordx4 s[20:23], s[4:5], 0x68
	s_load_dwordx2 s[6:7], s[4:5], 0x50
	v_and_b32_e32 v2, 7, v0
	v_lshrrev_b32_e32 v0, 3, v0
	s_cmp_lg_u32 s0, 1
	v_lshl_add_u32 v3, v0, 6, v1
	s_cselect_b64 s[8:9], -1, 0
	v_mul_u32_u24_e32 v1, 3, v2
	s_waitcnt lgkmcnt(0)
	s_cmp_eq_u32 s2, 0
	v_mad_u64_u32 v[6:7], s[2:3], v12, s22, 0
	s_movk_i32 s0, 0x60
	v_lshlrev_b32_e32 v1, 2, v1
	s_cselect_b64 s[2:3], -1, 0
	v_mul_u32_u24_e32 v16, 0x60, v0
	v_lshlrev_b32_e32 v13, 2, v12
	v_mad_u32_u24 v18, v0, s0, v1
	v_mov_b32_e32 v0, v7
	v_cndmask_b32_e64 v1, 0, 1, s[2:3]
	v_add_co_u32_e32 v19, vcc, s20, v13
	v_mad_u64_u32 v[12:13], s[16:17], v12, s23, v[0:1]
	v_mov_b32_e32 v5, 0
	v_mov_b32_e32 v14, s21
	;; [unrolled: 1-line block ×3, first 2 shown]
	v_addc_co_u32_e32 v20, vcc, 0, v14, vcc
	v_lshlrev_b64 v[0:1], v1, v[4:5]
	v_lshlrev_b64 v[4:5], 2, v[6:7]
	v_add_co_u32_e32 v21, vcc, s20, v4
	v_addc_co_u32_e32 v22, vcc, v14, v5, vcc
	s_and_b64 s[2:3], s[2:3], exec
	s_mov_b32 s25, 0
	s_mov_b32 s27, s1
	v_cmp_neq_f32_e64 s[4:5], s26, 0
	v_lshl_or_b32 v17, v2, 3, v3
	s_cselect_b32 s33, 1, 2
	s_mov_b64 s[16:17], 0
	s_waitcnt vmcnt(0)
	v_subrev_co_u32_e32 v4, vcc, s1, v8
	v_subbrev_co_u32_e32 v5, vcc, 0, v9, vcc
	v_subrev_co_u32_e32 v6, vcc, s1, v10
	v_subbrev_co_u32_e32 v7, vcc, 0, v11, vcc
	v_cmp_lt_i64_e64 s[0:1], v[8:9], v[10:11]
	s_branch .LBB29_9
.LBB29_8:                               ;   in Loop: Header=BB29_9 Depth=1
	s_or_b64 exec, exec, s[2:3]
	s_add_u32 s16, s16, 8
	s_addc_u32 s17, s17, 0
	v_pk_mov_b32 v[8:9], s[18:19], s[18:19] op_sel:[0,1]
	v_cmp_lt_i64_e32 vcc, s[16:17], v[8:9]
	s_cbranch_vccz .LBB29_30
.LBB29_9:                               ; =>This Loop Header: Depth=1
                                        ;     Child Loop BB29_12 Depth 2
                                        ;       Child Loop BB29_16 Depth 3
	v_or_b32_e64 v9, s17, 0
	v_or_b32_e32 v8, s16, v2
	v_mov_b32_e32 v23, 0
	s_and_saveexec_b64 s[20:21], s[0:1]
	s_cbranch_execz .LBB29_18
; %bb.10:                               ;   in Loop: Header=BB29_9 Depth=1
	v_lshlrev_b64 v[10:11], 2, v[8:9]
	v_mov_b32_e32 v12, s15
	v_add_co_u32_e64 v24, s[2:3], s14, v10
	v_cmp_gt_i64_e32 vcc, s[18:19], v[8:9]
	v_addc_co_u32_e64 v25, s[2:3], v12, v11, s[2:3]
	s_mov_b64 s[28:29], 0
	v_mov_b32_e32 v23, 0
	v_pk_mov_b32 v[10:11], v[4:5], v[4:5] op_sel:[0,1]
	s_branch .LBB29_12
.LBB29_11:                              ;   in Loop: Header=BB29_12 Depth=2
	s_or_b64 exec, exec, s[30:31]
	v_add_co_u32_e64 v10, s[2:3], 8, v10
	v_addc_co_u32_e64 v11, s[2:3], 0, v11, s[2:3]
	v_cmp_ge_i64_e64 s[2:3], v[10:11], v[6:7]
	s_or_b64 s[28:29], s[2:3], s[28:29]
	s_andn2_b64 exec, exec, s[28:29]
	s_cbranch_execz .LBB29_17
.LBB29_12:                              ;   Parent Loop BB29_9 Depth=1
                                        ; =>  This Loop Header: Depth=2
                                        ;       Child Loop BB29_16 Depth 3
	v_add_co_u32_e64 v12, s[2:3], v10, v2
	v_addc_co_u32_e64 v13, s[2:3], 0, v11, s[2:3]
	v_cmp_lt_i64_e64 s[2:3], v[12:13], v[6:7]
	v_pk_mov_b32 v[14:15], 0, 0
	v_mov_b32_e32 v26, 0
	v_mov_b32_e32 v27, 0
	s_and_saveexec_b64 s[30:31], s[2:3]
	s_cbranch_execz .LBB29_14
; %bb.13:                               ;   in Loop: Header=BB29_12 Depth=2
	v_lshlrev_b64 v[14:15], 3, v[12:13]
	v_lshlrev_b64 v[12:13], 2, v[12:13]
	v_mov_b32_e32 v26, s11
	v_add_co_u32_e64 v14, s[2:3], s10, v14
	v_or_b32_e32 v13, v13, v1
	v_or_b32_e32 v12, v12, v0
	v_addc_co_u32_e64 v15, s[2:3], v26, v15, s[2:3]
	v_lshlrev_b64 v[26:27], 2, v[12:13]
	global_load_dwordx2 v[14:15], v[14:15], off
	v_mov_b32_e32 v30, s13
	v_add_co_u32_e64 v28, s[2:3], s12, v26
	v_or_b32_e32 v13, 0, v13
	v_or_b32_e32 v12, s33, v12
	v_addc_co_u32_e64 v29, s[2:3], v30, v27, s[2:3]
	v_lshlrev_b64 v[12:13], 2, v[12:13]
	v_add_co_u32_e64 v12, s[2:3], s12, v12
	v_addc_co_u32_e64 v13, s[2:3], v30, v13, s[2:3]
	global_load_dword v26, v[28:29], off
	global_load_dword v27, v[12:13], off
	v_mov_b32_e32 v13, s25
	s_waitcnt vmcnt(2)
	v_subrev_co_u32_e64 v12, s[2:3], s27, v14
	v_subb_co_u32_e64 v13, s[2:3], v15, v13, s[2:3]
	v_lshlrev_b64 v[14:15], 1, v[12:13]
.LBB29_14:                              ;   in Loop: Header=BB29_12 Depth=2
	s_or_b64 exec, exec, s[30:31]
	ds_write_b64 v17, v[14:15]
	s_waitcnt vmcnt(0)
	ds_write2_b32 v18, v26, v27 offset1:1
	s_waitcnt lgkmcnt(0)
	; wave barrier
	s_waitcnt lgkmcnt(0)
	s_and_saveexec_b64 s[30:31], vcc
	s_cbranch_execz .LBB29_11
; %bb.15:                               ;   in Loop: Header=BB29_12 Depth=2
	s_mov_b32 s34, 0
	v_mov_b32_e32 v12, v16
.LBB29_16:                              ;   Parent Loop BB29_9 Depth=1
                                        ;     Parent Loop BB29_12 Depth=2
                                        ; =>    This Inner Loop Header: Depth=3
	v_add_u32_e32 v13, s34, v3
	ds_read_b128 v[26:29], v13
	s_lshl_b64 s[36:37], s[6:7], 2
	v_mov_b32_e32 v13, s37
	s_add_i32 s34, s34, 16
	s_cmp_lg_u32 s34, 64
	s_waitcnt lgkmcnt(0)
	v_mul_lo_u32 v30, v27, s6
	v_mul_lo_u32 v31, v26, s7
	v_mad_u64_u32 v[14:15], s[2:3], v26, s6, 0
	v_add3_u32 v15, v15, v31, v30
	v_mul_lo_u32 v29, v29, s6
	v_mul_lo_u32 v32, v28, s7
	v_mad_u64_u32 v[26:27], s[2:3], v28, s6, 0
	v_lshlrev_b64 v[14:15], 2, v[14:15]
	v_add3_u32 v27, v27, v32, v29
	v_add_co_u32_e64 v14, s[2:3], v24, v14
	v_lshlrev_b64 v[26:27], 2, v[26:27]
	v_addc_co_u32_e64 v15, s[2:3], v25, v15, s[2:3]
	v_add_co_u32_e64 v26, s[2:3], v24, v26
	v_addc_co_u32_e64 v27, s[2:3], v25, v27, s[2:3]
	v_add_co_u32_e64 v28, s[2:3], s36, v14
	;; [unrolled: 2-line block ×3, first 2 shown]
	v_addc_co_u32_e64 v31, s[2:3], v27, v13, s[2:3]
	global_load_dword v13, v[14:15], off
	global_load_dword v32, v[28:29], off
	;; [unrolled: 1-line block ×4, first 2 shown]
	ds_read_b64 v[14:15], v12
	ds_read2_b32 v[26:27], v12 offset0:3 offset1:4
	v_add_u32_e32 v12, 24, v12
	s_waitcnt vmcnt(3) lgkmcnt(1)
	v_fmac_f32_e32 v23, v14, v13
	s_waitcnt vmcnt(2)
	v_fmac_f32_e32 v23, v15, v32
	s_waitcnt vmcnt(1) lgkmcnt(0)
	v_fmac_f32_e32 v23, v26, v33
	s_waitcnt vmcnt(0)
	v_fmac_f32_e32 v23, v27, v34
	s_cbranch_scc1 .LBB29_16
	s_branch .LBB29_11
.LBB29_17:                              ;   in Loop: Header=BB29_9 Depth=1
	s_or_b64 exec, exec, s[28:29]
.LBB29_18:                              ;   in Loop: Header=BB29_9 Depth=1
	s_or_b64 exec, exec, s[20:21]
	v_cmp_gt_i64_e32 vcc, s[18:19], v[8:9]
	s_and_saveexec_b64 s[2:3], vcc
	s_cbranch_execz .LBB29_8
; %bb.19:                               ;   in Loop: Header=BB29_9 Depth=1
	s_mov_b64 s[20:21], -1
	s_and_b64 vcc, exec, s[4:5]
	s_cbranch_vccz .LBB29_25
; %bb.20:                               ;   in Loop: Header=BB29_9 Depth=1
	s_and_b64 vcc, exec, s[8:9]
	s_cbranch_vccz .LBB29_22
; %bb.21:                               ;   in Loop: Header=BB29_9 Depth=1
	v_lshlrev_b64 v[10:11], 2, v[8:9]
	v_add_co_u32_e32 v10, vcc, v21, v10
	v_addc_co_u32_e32 v11, vcc, v22, v11, vcc
	global_load_dword v12, v[10:11], off
	v_mul_f32_e32 v13, s24, v23
	s_mov_b64 s[20:21], 0
	s_waitcnt vmcnt(0)
	v_fmac_f32_e32 v13, s26, v12
	global_store_dword v[10:11], v13, off
.LBB29_22:                              ;   in Loop: Header=BB29_9 Depth=1
	s_andn2_b64 vcc, exec, s[20:21]
	s_cbranch_vccnz .LBB29_24
; %bb.23:                               ;   in Loop: Header=BB29_9 Depth=1
	v_mul_lo_u32 v12, v9, s22
	v_mul_lo_u32 v13, v8, s23
	v_mad_u64_u32 v[10:11], s[20:21], v8, s22, 0
	v_add3_u32 v11, v11, v13, v12
	v_lshlrev_b64 v[10:11], 2, v[10:11]
	v_add_co_u32_e32 v10, vcc, v19, v10
	v_addc_co_u32_e32 v11, vcc, v20, v11, vcc
	global_load_dword v12, v[10:11], off
	v_mul_f32_e32 v13, s24, v23
	s_waitcnt vmcnt(0)
	v_fmac_f32_e32 v13, s26, v12
	global_store_dword v[10:11], v13, off
.LBB29_24:                              ;   in Loop: Header=BB29_9 Depth=1
	s_mov_b64 s[20:21], 0
.LBB29_25:                              ;   in Loop: Header=BB29_9 Depth=1
	s_andn2_b64 vcc, exec, s[20:21]
	s_cbranch_vccnz .LBB29_8
; %bb.26:                               ;   in Loop: Header=BB29_9 Depth=1
	v_mul_f32_e32 v10, s24, v23
	s_mov_b64 s[20:21], -1
	s_and_b64 vcc, exec, s[8:9]
	s_cbranch_vccz .LBB29_28
; %bb.27:                               ;   in Loop: Header=BB29_9 Depth=1
	v_lshlrev_b64 v[12:13], 2, v[8:9]
	v_add_co_u32_e32 v12, vcc, v21, v12
	v_addc_co_u32_e32 v13, vcc, v22, v13, vcc
	global_store_dword v[12:13], v10, off
	s_mov_b64 s[20:21], 0
.LBB29_28:                              ;   in Loop: Header=BB29_9 Depth=1
	s_andn2_b64 vcc, exec, s[20:21]
	s_cbranch_vccnz .LBB29_8
; %bb.29:                               ;   in Loop: Header=BB29_9 Depth=1
	v_mul_lo_u32 v11, v9, s22
	v_mul_lo_u32 v12, v8, s23
	v_mad_u64_u32 v[8:9], s[20:21], v8, s22, 0
	v_add3_u32 v9, v9, v12, v11
	v_lshlrev_b64 v[8:9], 2, v[8:9]
	v_add_co_u32_e32 v8, vcc, v19, v8
	v_addc_co_u32_e32 v9, vcc, v20, v9, vcc
	global_store_dword v[8:9], v10, off
	s_branch .LBB29_8
.LBB29_30:
	s_endpgm
	.section	.rodata,"a",@progbits
	.p2align	6, 0x0
	.amdhsa_kernel _ZN9rocsparseL29bsrmmnt_small_blockdim_kernelILj64ELj8ELj2EllffffEEv20rocsparse_direction_T3_S2_llNS_24const_host_device_scalarIT7_EEPKT2_PKS2_PKT4_PKT5_llS5_PT6_ll16rocsparse_order_21rocsparse_index_base_b
		.amdhsa_group_segment_fixed_size 1280
		.amdhsa_private_segment_fixed_size 0
		.amdhsa_kernarg_size 400
		.amdhsa_user_sgpr_count 6
		.amdhsa_user_sgpr_private_segment_buffer 1
		.amdhsa_user_sgpr_dispatch_ptr 0
		.amdhsa_user_sgpr_queue_ptr 0
		.amdhsa_user_sgpr_kernarg_segment_ptr 1
		.amdhsa_user_sgpr_dispatch_id 0
		.amdhsa_user_sgpr_flat_scratch_init 0
		.amdhsa_user_sgpr_kernarg_preload_length 0
		.amdhsa_user_sgpr_kernarg_preload_offset 0
		.amdhsa_user_sgpr_private_segment_size 0
		.amdhsa_uses_dynamic_stack 0
		.amdhsa_system_sgpr_private_segment_wavefront_offset 0
		.amdhsa_system_sgpr_workgroup_id_x 1
		.amdhsa_system_sgpr_workgroup_id_y 0
		.amdhsa_system_sgpr_workgroup_id_z 0
		.amdhsa_system_sgpr_workgroup_info 0
		.amdhsa_system_vgpr_workitem_id 0
		.amdhsa_next_free_vgpr 35
		.amdhsa_next_free_sgpr 38
		.amdhsa_accum_offset 36
		.amdhsa_reserve_vcc 1
		.amdhsa_reserve_flat_scratch 0
		.amdhsa_float_round_mode_32 0
		.amdhsa_float_round_mode_16_64 0
		.amdhsa_float_denorm_mode_32 3
		.amdhsa_float_denorm_mode_16_64 3
		.amdhsa_dx10_clamp 1
		.amdhsa_ieee_mode 1
		.amdhsa_fp16_overflow 0
		.amdhsa_tg_split 0
		.amdhsa_exception_fp_ieee_invalid_op 0
		.amdhsa_exception_fp_denorm_src 0
		.amdhsa_exception_fp_ieee_div_zero 0
		.amdhsa_exception_fp_ieee_overflow 0
		.amdhsa_exception_fp_ieee_underflow 0
		.amdhsa_exception_fp_ieee_inexact 0
		.amdhsa_exception_int_div_zero 0
	.end_amdhsa_kernel
	.section	.text._ZN9rocsparseL29bsrmmnt_small_blockdim_kernelILj64ELj8ELj2EllffffEEv20rocsparse_direction_T3_S2_llNS_24const_host_device_scalarIT7_EEPKT2_PKS2_PKT4_PKT5_llS5_PT6_ll16rocsparse_order_21rocsparse_index_base_b,"axG",@progbits,_ZN9rocsparseL29bsrmmnt_small_blockdim_kernelILj64ELj8ELj2EllffffEEv20rocsparse_direction_T3_S2_llNS_24const_host_device_scalarIT7_EEPKT2_PKS2_PKT4_PKT5_llS5_PT6_ll16rocsparse_order_21rocsparse_index_base_b,comdat
.Lfunc_end29:
	.size	_ZN9rocsparseL29bsrmmnt_small_blockdim_kernelILj64ELj8ELj2EllffffEEv20rocsparse_direction_T3_S2_llNS_24const_host_device_scalarIT7_EEPKT2_PKS2_PKT4_PKT5_llS5_PT6_ll16rocsparse_order_21rocsparse_index_base_b, .Lfunc_end29-_ZN9rocsparseL29bsrmmnt_small_blockdim_kernelILj64ELj8ELj2EllffffEEv20rocsparse_direction_T3_S2_llNS_24const_host_device_scalarIT7_EEPKT2_PKS2_PKT4_PKT5_llS5_PT6_ll16rocsparse_order_21rocsparse_index_base_b
                                        ; -- End function
	.section	.AMDGPU.csdata,"",@progbits
; Kernel info:
; codeLenInByte = 1420
; NumSgprs: 42
; NumVgprs: 35
; NumAgprs: 0
; TotalNumVgprs: 35
; ScratchSize: 0
; MemoryBound: 0
; FloatMode: 240
; IeeeMode: 1
; LDSByteSize: 1280 bytes/workgroup (compile time only)
; SGPRBlocks: 5
; VGPRBlocks: 4
; NumSGPRsForWavesPerEU: 42
; NumVGPRsForWavesPerEU: 35
; AccumOffset: 36
; Occupancy: 8
; WaveLimiterHint : 1
; COMPUTE_PGM_RSRC2:SCRATCH_EN: 0
; COMPUTE_PGM_RSRC2:USER_SGPR: 6
; COMPUTE_PGM_RSRC2:TRAP_HANDLER: 0
; COMPUTE_PGM_RSRC2:TGID_X_EN: 1
; COMPUTE_PGM_RSRC2:TGID_Y_EN: 0
; COMPUTE_PGM_RSRC2:TGID_Z_EN: 0
; COMPUTE_PGM_RSRC2:TIDIG_COMP_CNT: 0
; COMPUTE_PGM_RSRC3_GFX90A:ACCUM_OFFSET: 8
; COMPUTE_PGM_RSRC3_GFX90A:TG_SPLIT: 0
	.section	.text._ZN9rocsparseL29bsrmmnt_small_blockdim_kernelILj64ELj16ELj2EllffffEEv20rocsparse_direction_T3_S2_llNS_24const_host_device_scalarIT7_EEPKT2_PKS2_PKT4_PKT5_llS5_PT6_ll16rocsparse_order_21rocsparse_index_base_b,"axG",@progbits,_ZN9rocsparseL29bsrmmnt_small_blockdim_kernelILj64ELj16ELj2EllffffEEv20rocsparse_direction_T3_S2_llNS_24const_host_device_scalarIT7_EEPKT2_PKS2_PKT4_PKT5_llS5_PT6_ll16rocsparse_order_21rocsparse_index_base_b,comdat
	.globl	_ZN9rocsparseL29bsrmmnt_small_blockdim_kernelILj64ELj16ELj2EllffffEEv20rocsparse_direction_T3_S2_llNS_24const_host_device_scalarIT7_EEPKT2_PKS2_PKT4_PKT5_llS5_PT6_ll16rocsparse_order_21rocsparse_index_base_b ; -- Begin function _ZN9rocsparseL29bsrmmnt_small_blockdim_kernelILj64ELj16ELj2EllffffEEv20rocsparse_direction_T3_S2_llNS_24const_host_device_scalarIT7_EEPKT2_PKS2_PKT4_PKT5_llS5_PT6_ll16rocsparse_order_21rocsparse_index_base_b
	.p2align	8
	.type	_ZN9rocsparseL29bsrmmnt_small_blockdim_kernelILj64ELj16ELj2EllffffEEv20rocsparse_direction_T3_S2_llNS_24const_host_device_scalarIT7_EEPKT2_PKS2_PKT4_PKT5_llS5_PT6_ll16rocsparse_order_21rocsparse_index_base_b,@function
_ZN9rocsparseL29bsrmmnt_small_blockdim_kernelILj64ELj16ELj2EllffffEEv20rocsparse_direction_T3_S2_llNS_24const_host_device_scalarIT7_EEPKT2_PKS2_PKT4_PKT5_llS5_PT6_ll16rocsparse_order_21rocsparse_index_base_b: ; @_ZN9rocsparseL29bsrmmnt_small_blockdim_kernelILj64ELj16ELj2EllffffEEv20rocsparse_direction_T3_S2_llNS_24const_host_device_scalarIT7_EEPKT2_PKS2_PKT4_PKT5_llS5_PT6_ll16rocsparse_order_21rocsparse_index_base_b
; %bb.0:
	s_load_dwordx4 s[0:3], s[4:5], 0x80
	s_load_dwordx2 s[24:25], s[4:5], 0x28
	s_load_dwordx2 s[26:27], s[4:5], 0x60
	s_waitcnt lgkmcnt(0)
	s_bitcmp1_b32 s2, 0
	s_cselect_b64 s[8:9], -1, 0
	s_xor_b64 s[2:3], s[8:9], -1
	s_and_b64 vcc, exec, s[8:9]
	s_cbranch_vccnz .LBB30_2
; %bb.1:
	s_load_dword s24, s[24:25], 0x0
.LBB30_2:
	s_andn2_b64 vcc, exec, s[2:3]
	s_cbranch_vccnz .LBB30_4
; %bb.3:
	s_load_dword s26, s[26:27], 0x0
.LBB30_4:
	s_waitcnt lgkmcnt(0)
	v_cmp_eq_f32_e64 s[2:3], s24, 0
	v_cmp_eq_f32_e64 s[8:9], s26, 1.0
	s_and_b64 s[2:3], s[2:3], s[8:9]
	s_and_b64 vcc, exec, s[2:3]
	s_cbranch_vccnz .LBB30_30
; %bb.5:
	s_load_dword s2, s[4:5], 0x9c
	s_load_dwordx4 s[16:19], s[4:5], 0x8
	v_mov_b32_e32 v3, 0
	s_waitcnt lgkmcnt(0)
	s_and_b32 s2, s2, 0xffff
	s_mul_i32 s6, s6, s2
	v_add_u32_e32 v1, s6, v0
	v_lshrrev_b32_e32 v2, 5, v1
	v_cmp_gt_i64_e32 vcc, s[16:17], v[2:3]
	s_and_saveexec_b64 s[2:3], vcc
	s_cbranch_execz .LBB30_30
; %bb.6:
	v_cmp_lt_i64_e64 s[2:3], s[18:19], 1
	s_and_b64 vcc, exec, s[2:3]
	s_cbranch_vccnz .LBB30_30
; %bb.7:
	s_load_dwordx8 s[8:15], s[4:5], 0x30
	v_lshlrev_b32_e32 v2, 3, v2
	v_lshrrev_b32_e32 v12, 4, v1
	v_bfe_u32 v4, v1, 4, 1
	v_mov_b32_e32 v1, 0x300
	s_waitcnt lgkmcnt(0)
	global_load_dwordx4 v[8:11], v2, s[8:9]
	s_load_dword s2, s[4:5], 0x0
	s_load_dwordx4 s[20:23], s[4:5], 0x68
	s_load_dwordx2 s[6:7], s[4:5], 0x50
	v_and_b32_e32 v2, 15, v0
	v_lshrrev_b32_e32 v0, 4, v0
	s_cmp_lg_u32 s0, 1
	v_lshl_add_u32 v3, v0, 7, v1
	s_cselect_b64 s[8:9], -1, 0
	v_mul_u32_u24_e32 v1, 3, v2
	s_waitcnt lgkmcnt(0)
	s_cmp_eq_u32 s2, 0
	v_mad_u64_u32 v[6:7], s[2:3], v12, s22, 0
	s_movk_i32 s0, 0xc0
	v_lshlrev_b32_e32 v1, 2, v1
	s_cselect_b64 s[2:3], -1, 0
	v_mul_u32_u24_e32 v16, 0xc0, v0
	v_lshlrev_b32_e32 v13, 2, v12
	v_mad_u32_u24 v18, v0, s0, v1
	v_mov_b32_e32 v0, v7
	v_cndmask_b32_e64 v1, 0, 1, s[2:3]
	v_add_co_u32_e32 v19, vcc, s20, v13
	v_mad_u64_u32 v[12:13], s[16:17], v12, s23, v[0:1]
	v_mov_b32_e32 v5, 0
	v_mov_b32_e32 v14, s21
	;; [unrolled: 1-line block ×3, first 2 shown]
	v_addc_co_u32_e32 v20, vcc, 0, v14, vcc
	v_lshlrev_b64 v[0:1], v1, v[4:5]
	v_lshlrev_b64 v[4:5], 2, v[6:7]
	v_add_co_u32_e32 v21, vcc, s20, v4
	v_addc_co_u32_e32 v22, vcc, v14, v5, vcc
	s_and_b64 s[2:3], s[2:3], exec
	s_mov_b32 s25, 0
	s_mov_b32 s27, s1
	v_cmp_neq_f32_e64 s[4:5], s26, 0
	v_lshl_or_b32 v17, v2, 3, v3
	s_cselect_b32 s33, 1, 2
	s_mov_b64 s[16:17], 0
	s_waitcnt vmcnt(0)
	v_subrev_co_u32_e32 v4, vcc, s1, v8
	v_subbrev_co_u32_e32 v5, vcc, 0, v9, vcc
	v_subrev_co_u32_e32 v6, vcc, s1, v10
	v_subbrev_co_u32_e32 v7, vcc, 0, v11, vcc
	v_cmp_lt_i64_e64 s[0:1], v[8:9], v[10:11]
	s_branch .LBB30_9
.LBB30_8:                               ;   in Loop: Header=BB30_9 Depth=1
	s_or_b64 exec, exec, s[2:3]
	s_add_u32 s16, s16, 16
	s_addc_u32 s17, s17, 0
	v_pk_mov_b32 v[8:9], s[18:19], s[18:19] op_sel:[0,1]
	v_cmp_lt_i64_e32 vcc, s[16:17], v[8:9]
	s_cbranch_vccz .LBB30_30
.LBB30_9:                               ; =>This Loop Header: Depth=1
                                        ;     Child Loop BB30_12 Depth 2
                                        ;       Child Loop BB30_16 Depth 3
	v_or_b32_e64 v9, s17, 0
	v_or_b32_e32 v8, s16, v2
	v_mov_b32_e32 v23, 0
	s_and_saveexec_b64 s[20:21], s[0:1]
	s_cbranch_execz .LBB30_18
; %bb.10:                               ;   in Loop: Header=BB30_9 Depth=1
	v_lshlrev_b64 v[10:11], 2, v[8:9]
	v_mov_b32_e32 v12, s15
	v_add_co_u32_e64 v24, s[2:3], s14, v10
	v_cmp_gt_i64_e32 vcc, s[18:19], v[8:9]
	v_addc_co_u32_e64 v25, s[2:3], v12, v11, s[2:3]
	s_mov_b64 s[28:29], 0
	v_mov_b32_e32 v23, 0
	v_pk_mov_b32 v[10:11], v[4:5], v[4:5] op_sel:[0,1]
	s_branch .LBB30_12
.LBB30_11:                              ;   in Loop: Header=BB30_12 Depth=2
	s_or_b64 exec, exec, s[30:31]
	v_add_co_u32_e64 v10, s[2:3], 16, v10
	v_addc_co_u32_e64 v11, s[2:3], 0, v11, s[2:3]
	v_cmp_ge_i64_e64 s[2:3], v[10:11], v[6:7]
	s_or_b64 s[28:29], s[2:3], s[28:29]
	s_andn2_b64 exec, exec, s[28:29]
	s_cbranch_execz .LBB30_17
.LBB30_12:                              ;   Parent Loop BB30_9 Depth=1
                                        ; =>  This Loop Header: Depth=2
                                        ;       Child Loop BB30_16 Depth 3
	v_add_co_u32_e64 v12, s[2:3], v10, v2
	v_addc_co_u32_e64 v13, s[2:3], 0, v11, s[2:3]
	v_cmp_lt_i64_e64 s[2:3], v[12:13], v[6:7]
	v_pk_mov_b32 v[14:15], 0, 0
	v_mov_b32_e32 v26, 0
	v_mov_b32_e32 v27, 0
	s_and_saveexec_b64 s[30:31], s[2:3]
	s_cbranch_execz .LBB30_14
; %bb.13:                               ;   in Loop: Header=BB30_12 Depth=2
	v_lshlrev_b64 v[14:15], 3, v[12:13]
	v_lshlrev_b64 v[12:13], 2, v[12:13]
	v_mov_b32_e32 v26, s11
	v_add_co_u32_e64 v14, s[2:3], s10, v14
	v_or_b32_e32 v13, v13, v1
	v_or_b32_e32 v12, v12, v0
	v_addc_co_u32_e64 v15, s[2:3], v26, v15, s[2:3]
	v_lshlrev_b64 v[26:27], 2, v[12:13]
	global_load_dwordx2 v[14:15], v[14:15], off
	v_mov_b32_e32 v30, s13
	v_add_co_u32_e64 v28, s[2:3], s12, v26
	v_or_b32_e32 v13, 0, v13
	v_or_b32_e32 v12, s33, v12
	v_addc_co_u32_e64 v29, s[2:3], v30, v27, s[2:3]
	v_lshlrev_b64 v[12:13], 2, v[12:13]
	v_add_co_u32_e64 v12, s[2:3], s12, v12
	v_addc_co_u32_e64 v13, s[2:3], v30, v13, s[2:3]
	global_load_dword v26, v[28:29], off
	global_load_dword v27, v[12:13], off
	v_mov_b32_e32 v13, s25
	s_waitcnt vmcnt(2)
	v_subrev_co_u32_e64 v12, s[2:3], s27, v14
	v_subb_co_u32_e64 v13, s[2:3], v15, v13, s[2:3]
	v_lshlrev_b64 v[14:15], 1, v[12:13]
.LBB30_14:                              ;   in Loop: Header=BB30_12 Depth=2
	s_or_b64 exec, exec, s[30:31]
	ds_write_b64 v17, v[14:15]
	s_waitcnt vmcnt(0)
	ds_write2_b32 v18, v26, v27 offset1:1
	s_waitcnt lgkmcnt(0)
	; wave barrier
	s_waitcnt lgkmcnt(0)
	s_and_saveexec_b64 s[30:31], vcc
	s_cbranch_execz .LBB30_11
; %bb.15:                               ;   in Loop: Header=BB30_12 Depth=2
	s_mov_b32 s34, 0
	v_mov_b32_e32 v12, v16
.LBB30_16:                              ;   Parent Loop BB30_9 Depth=1
                                        ;     Parent Loop BB30_12 Depth=2
                                        ; =>    This Inner Loop Header: Depth=3
	v_add_u32_e32 v13, s34, v3
	ds_read_b128 v[26:29], v13
	s_lshl_b64 s[36:37], s[6:7], 2
	v_mov_b32_e32 v13, s37
	s_add_i32 s34, s34, 16
	s_cmpk_lg_i32 s34, 0x80
	s_waitcnt lgkmcnt(0)
	v_mul_lo_u32 v30, v27, s6
	v_mul_lo_u32 v31, v26, s7
	v_mad_u64_u32 v[14:15], s[2:3], v26, s6, 0
	v_add3_u32 v15, v15, v31, v30
	v_mul_lo_u32 v29, v29, s6
	v_mul_lo_u32 v32, v28, s7
	v_mad_u64_u32 v[26:27], s[2:3], v28, s6, 0
	v_lshlrev_b64 v[14:15], 2, v[14:15]
	v_add3_u32 v27, v27, v32, v29
	v_add_co_u32_e64 v14, s[2:3], v24, v14
	v_lshlrev_b64 v[26:27], 2, v[26:27]
	v_addc_co_u32_e64 v15, s[2:3], v25, v15, s[2:3]
	v_add_co_u32_e64 v26, s[2:3], v24, v26
	v_addc_co_u32_e64 v27, s[2:3], v25, v27, s[2:3]
	v_add_co_u32_e64 v28, s[2:3], s36, v14
	;; [unrolled: 2-line block ×3, first 2 shown]
	v_addc_co_u32_e64 v31, s[2:3], v27, v13, s[2:3]
	global_load_dword v13, v[14:15], off
	global_load_dword v32, v[28:29], off
	;; [unrolled: 1-line block ×4, first 2 shown]
	ds_read_b64 v[14:15], v12
	ds_read2_b32 v[26:27], v12 offset0:3 offset1:4
	v_add_u32_e32 v12, 24, v12
	s_waitcnt vmcnt(3) lgkmcnt(1)
	v_fmac_f32_e32 v23, v14, v13
	s_waitcnt vmcnt(2)
	v_fmac_f32_e32 v23, v15, v32
	s_waitcnt vmcnt(1) lgkmcnt(0)
	v_fmac_f32_e32 v23, v26, v33
	s_waitcnt vmcnt(0)
	v_fmac_f32_e32 v23, v27, v34
	s_cbranch_scc1 .LBB30_16
	s_branch .LBB30_11
.LBB30_17:                              ;   in Loop: Header=BB30_9 Depth=1
	s_or_b64 exec, exec, s[28:29]
.LBB30_18:                              ;   in Loop: Header=BB30_9 Depth=1
	s_or_b64 exec, exec, s[20:21]
	v_cmp_gt_i64_e32 vcc, s[18:19], v[8:9]
	s_and_saveexec_b64 s[2:3], vcc
	s_cbranch_execz .LBB30_8
; %bb.19:                               ;   in Loop: Header=BB30_9 Depth=1
	s_mov_b64 s[20:21], -1
	s_and_b64 vcc, exec, s[4:5]
	s_cbranch_vccz .LBB30_25
; %bb.20:                               ;   in Loop: Header=BB30_9 Depth=1
	s_and_b64 vcc, exec, s[8:9]
	s_cbranch_vccz .LBB30_22
; %bb.21:                               ;   in Loop: Header=BB30_9 Depth=1
	v_lshlrev_b64 v[10:11], 2, v[8:9]
	v_add_co_u32_e32 v10, vcc, v21, v10
	v_addc_co_u32_e32 v11, vcc, v22, v11, vcc
	global_load_dword v12, v[10:11], off
	v_mul_f32_e32 v13, s24, v23
	s_mov_b64 s[20:21], 0
	s_waitcnt vmcnt(0)
	v_fmac_f32_e32 v13, s26, v12
	global_store_dword v[10:11], v13, off
.LBB30_22:                              ;   in Loop: Header=BB30_9 Depth=1
	s_andn2_b64 vcc, exec, s[20:21]
	s_cbranch_vccnz .LBB30_24
; %bb.23:                               ;   in Loop: Header=BB30_9 Depth=1
	v_mul_lo_u32 v12, v9, s22
	v_mul_lo_u32 v13, v8, s23
	v_mad_u64_u32 v[10:11], s[20:21], v8, s22, 0
	v_add3_u32 v11, v11, v13, v12
	v_lshlrev_b64 v[10:11], 2, v[10:11]
	v_add_co_u32_e32 v10, vcc, v19, v10
	v_addc_co_u32_e32 v11, vcc, v20, v11, vcc
	global_load_dword v12, v[10:11], off
	v_mul_f32_e32 v13, s24, v23
	s_waitcnt vmcnt(0)
	v_fmac_f32_e32 v13, s26, v12
	global_store_dword v[10:11], v13, off
.LBB30_24:                              ;   in Loop: Header=BB30_9 Depth=1
	s_mov_b64 s[20:21], 0
.LBB30_25:                              ;   in Loop: Header=BB30_9 Depth=1
	s_andn2_b64 vcc, exec, s[20:21]
	s_cbranch_vccnz .LBB30_8
; %bb.26:                               ;   in Loop: Header=BB30_9 Depth=1
	v_mul_f32_e32 v10, s24, v23
	s_mov_b64 s[20:21], -1
	s_and_b64 vcc, exec, s[8:9]
	s_cbranch_vccz .LBB30_28
; %bb.27:                               ;   in Loop: Header=BB30_9 Depth=1
	v_lshlrev_b64 v[12:13], 2, v[8:9]
	v_add_co_u32_e32 v12, vcc, v21, v12
	v_addc_co_u32_e32 v13, vcc, v22, v13, vcc
	global_store_dword v[12:13], v10, off
	s_mov_b64 s[20:21], 0
.LBB30_28:                              ;   in Loop: Header=BB30_9 Depth=1
	s_andn2_b64 vcc, exec, s[20:21]
	s_cbranch_vccnz .LBB30_8
; %bb.29:                               ;   in Loop: Header=BB30_9 Depth=1
	v_mul_lo_u32 v11, v9, s22
	v_mul_lo_u32 v12, v8, s23
	v_mad_u64_u32 v[8:9], s[20:21], v8, s22, 0
	v_add3_u32 v9, v9, v12, v11
	v_lshlrev_b64 v[8:9], 2, v[8:9]
	v_add_co_u32_e32 v8, vcc, v19, v8
	v_addc_co_u32_e32 v9, vcc, v20, v9, vcc
	global_store_dword v[8:9], v10, off
	s_branch .LBB30_8
.LBB30_30:
	s_endpgm
	.section	.rodata,"a",@progbits
	.p2align	6, 0x0
	.amdhsa_kernel _ZN9rocsparseL29bsrmmnt_small_blockdim_kernelILj64ELj16ELj2EllffffEEv20rocsparse_direction_T3_S2_llNS_24const_host_device_scalarIT7_EEPKT2_PKS2_PKT4_PKT5_llS5_PT6_ll16rocsparse_order_21rocsparse_index_base_b
		.amdhsa_group_segment_fixed_size 1280
		.amdhsa_private_segment_fixed_size 0
		.amdhsa_kernarg_size 400
		.amdhsa_user_sgpr_count 6
		.amdhsa_user_sgpr_private_segment_buffer 1
		.amdhsa_user_sgpr_dispatch_ptr 0
		.amdhsa_user_sgpr_queue_ptr 0
		.amdhsa_user_sgpr_kernarg_segment_ptr 1
		.amdhsa_user_sgpr_dispatch_id 0
		.amdhsa_user_sgpr_flat_scratch_init 0
		.amdhsa_user_sgpr_kernarg_preload_length 0
		.amdhsa_user_sgpr_kernarg_preload_offset 0
		.amdhsa_user_sgpr_private_segment_size 0
		.amdhsa_uses_dynamic_stack 0
		.amdhsa_system_sgpr_private_segment_wavefront_offset 0
		.amdhsa_system_sgpr_workgroup_id_x 1
		.amdhsa_system_sgpr_workgroup_id_y 0
		.amdhsa_system_sgpr_workgroup_id_z 0
		.amdhsa_system_sgpr_workgroup_info 0
		.amdhsa_system_vgpr_workitem_id 0
		.amdhsa_next_free_vgpr 35
		.amdhsa_next_free_sgpr 38
		.amdhsa_accum_offset 36
		.amdhsa_reserve_vcc 1
		.amdhsa_reserve_flat_scratch 0
		.amdhsa_float_round_mode_32 0
		.amdhsa_float_round_mode_16_64 0
		.amdhsa_float_denorm_mode_32 3
		.amdhsa_float_denorm_mode_16_64 3
		.amdhsa_dx10_clamp 1
		.amdhsa_ieee_mode 1
		.amdhsa_fp16_overflow 0
		.amdhsa_tg_split 0
		.amdhsa_exception_fp_ieee_invalid_op 0
		.amdhsa_exception_fp_denorm_src 0
		.amdhsa_exception_fp_ieee_div_zero 0
		.amdhsa_exception_fp_ieee_overflow 0
		.amdhsa_exception_fp_ieee_underflow 0
		.amdhsa_exception_fp_ieee_inexact 0
		.amdhsa_exception_int_div_zero 0
	.end_amdhsa_kernel
	.section	.text._ZN9rocsparseL29bsrmmnt_small_blockdim_kernelILj64ELj16ELj2EllffffEEv20rocsparse_direction_T3_S2_llNS_24const_host_device_scalarIT7_EEPKT2_PKS2_PKT4_PKT5_llS5_PT6_ll16rocsparse_order_21rocsparse_index_base_b,"axG",@progbits,_ZN9rocsparseL29bsrmmnt_small_blockdim_kernelILj64ELj16ELj2EllffffEEv20rocsparse_direction_T3_S2_llNS_24const_host_device_scalarIT7_EEPKT2_PKS2_PKT4_PKT5_llS5_PT6_ll16rocsparse_order_21rocsparse_index_base_b,comdat
.Lfunc_end30:
	.size	_ZN9rocsparseL29bsrmmnt_small_blockdim_kernelILj64ELj16ELj2EllffffEEv20rocsparse_direction_T3_S2_llNS_24const_host_device_scalarIT7_EEPKT2_PKS2_PKT4_PKT5_llS5_PT6_ll16rocsparse_order_21rocsparse_index_base_b, .Lfunc_end30-_ZN9rocsparseL29bsrmmnt_small_blockdim_kernelILj64ELj16ELj2EllffffEEv20rocsparse_direction_T3_S2_llNS_24const_host_device_scalarIT7_EEPKT2_PKS2_PKT4_PKT5_llS5_PT6_ll16rocsparse_order_21rocsparse_index_base_b
                                        ; -- End function
	.section	.AMDGPU.csdata,"",@progbits
; Kernel info:
; codeLenInByte = 1420
; NumSgprs: 42
; NumVgprs: 35
; NumAgprs: 0
; TotalNumVgprs: 35
; ScratchSize: 0
; MemoryBound: 0
; FloatMode: 240
; IeeeMode: 1
; LDSByteSize: 1280 bytes/workgroup (compile time only)
; SGPRBlocks: 5
; VGPRBlocks: 4
; NumSGPRsForWavesPerEU: 42
; NumVGPRsForWavesPerEU: 35
; AccumOffset: 36
; Occupancy: 8
; WaveLimiterHint : 1
; COMPUTE_PGM_RSRC2:SCRATCH_EN: 0
; COMPUTE_PGM_RSRC2:USER_SGPR: 6
; COMPUTE_PGM_RSRC2:TRAP_HANDLER: 0
; COMPUTE_PGM_RSRC2:TGID_X_EN: 1
; COMPUTE_PGM_RSRC2:TGID_Y_EN: 0
; COMPUTE_PGM_RSRC2:TGID_Z_EN: 0
; COMPUTE_PGM_RSRC2:TIDIG_COMP_CNT: 0
; COMPUTE_PGM_RSRC3_GFX90A:ACCUM_OFFSET: 8
; COMPUTE_PGM_RSRC3_GFX90A:TG_SPLIT: 0
	.section	.text._ZN9rocsparseL29bsrmmnt_small_blockdim_kernelILj64ELj32ELj2EllffffEEv20rocsparse_direction_T3_S2_llNS_24const_host_device_scalarIT7_EEPKT2_PKS2_PKT4_PKT5_llS5_PT6_ll16rocsparse_order_21rocsparse_index_base_b,"axG",@progbits,_ZN9rocsparseL29bsrmmnt_small_blockdim_kernelILj64ELj32ELj2EllffffEEv20rocsparse_direction_T3_S2_llNS_24const_host_device_scalarIT7_EEPKT2_PKS2_PKT4_PKT5_llS5_PT6_ll16rocsparse_order_21rocsparse_index_base_b,comdat
	.globl	_ZN9rocsparseL29bsrmmnt_small_blockdim_kernelILj64ELj32ELj2EllffffEEv20rocsparse_direction_T3_S2_llNS_24const_host_device_scalarIT7_EEPKT2_PKS2_PKT4_PKT5_llS5_PT6_ll16rocsparse_order_21rocsparse_index_base_b ; -- Begin function _ZN9rocsparseL29bsrmmnt_small_blockdim_kernelILj64ELj32ELj2EllffffEEv20rocsparse_direction_T3_S2_llNS_24const_host_device_scalarIT7_EEPKT2_PKS2_PKT4_PKT5_llS5_PT6_ll16rocsparse_order_21rocsparse_index_base_b
	.p2align	8
	.type	_ZN9rocsparseL29bsrmmnt_small_blockdim_kernelILj64ELj32ELj2EllffffEEv20rocsparse_direction_T3_S2_llNS_24const_host_device_scalarIT7_EEPKT2_PKS2_PKT4_PKT5_llS5_PT6_ll16rocsparse_order_21rocsparse_index_base_b,@function
_ZN9rocsparseL29bsrmmnt_small_blockdim_kernelILj64ELj32ELj2EllffffEEv20rocsparse_direction_T3_S2_llNS_24const_host_device_scalarIT7_EEPKT2_PKS2_PKT4_PKT5_llS5_PT6_ll16rocsparse_order_21rocsparse_index_base_b: ; @_ZN9rocsparseL29bsrmmnt_small_blockdim_kernelILj64ELj32ELj2EllffffEEv20rocsparse_direction_T3_S2_llNS_24const_host_device_scalarIT7_EEPKT2_PKS2_PKT4_PKT5_llS5_PT6_ll16rocsparse_order_21rocsparse_index_base_b
; %bb.0:
	s_load_dwordx4 s[0:3], s[4:5], 0x80
	s_load_dwordx2 s[24:25], s[4:5], 0x28
	s_load_dwordx2 s[26:27], s[4:5], 0x60
	s_waitcnt lgkmcnt(0)
	s_bitcmp1_b32 s2, 0
	s_cselect_b64 s[8:9], -1, 0
	s_xor_b64 s[2:3], s[8:9], -1
	s_and_b64 vcc, exec, s[8:9]
	s_cbranch_vccnz .LBB31_2
; %bb.1:
	s_load_dword s24, s[24:25], 0x0
.LBB31_2:
	s_andn2_b64 vcc, exec, s[2:3]
	s_cbranch_vccnz .LBB31_4
; %bb.3:
	s_load_dword s26, s[26:27], 0x0
.LBB31_4:
	s_waitcnt lgkmcnt(0)
	v_cmp_eq_f32_e64 s[2:3], s24, 0
	v_cmp_eq_f32_e64 s[8:9], s26, 1.0
	s_and_b64 s[2:3], s[2:3], s[8:9]
	s_and_b64 vcc, exec, s[2:3]
	s_cbranch_vccnz .LBB31_30
; %bb.5:
	s_load_dword s2, s[4:5], 0x9c
	s_load_dwordx4 s[16:19], s[4:5], 0x8
	v_mov_b32_e32 v3, 0
	s_waitcnt lgkmcnt(0)
	s_and_b32 s2, s2, 0xffff
	s_mul_i32 s6, s6, s2
	v_add_u32_e32 v1, s6, v0
	v_lshrrev_b32_e32 v2, 6, v1
	v_cmp_gt_i64_e32 vcc, s[16:17], v[2:3]
	s_and_saveexec_b64 s[2:3], vcc
	s_cbranch_execz .LBB31_30
; %bb.6:
	v_cmp_lt_i64_e64 s[2:3], s[18:19], 1
	s_and_b64 vcc, exec, s[2:3]
	s_cbranch_vccnz .LBB31_30
; %bb.7:
	s_load_dwordx8 s[8:15], s[4:5], 0x30
	v_lshlrev_b32_e32 v2, 3, v2
	v_lshrrev_b32_e32 v12, 5, v1
	v_bfe_u32 v4, v1, 5, 1
	v_mov_b32_e32 v1, 0x300
	s_waitcnt lgkmcnt(0)
	global_load_dwordx4 v[8:11], v2, s[8:9]
	s_load_dword s2, s[4:5], 0x0
	s_load_dwordx4 s[20:23], s[4:5], 0x68
	s_load_dwordx2 s[6:7], s[4:5], 0x50
	v_and_b32_e32 v2, 31, v0
	v_lshrrev_b32_e32 v0, 5, v0
	s_cmp_lg_u32 s0, 1
	v_lshl_add_u32 v3, v0, 8, v1
	s_cselect_b64 s[8:9], -1, 0
	v_mul_u32_u24_e32 v1, 3, v2
	s_waitcnt lgkmcnt(0)
	s_cmp_eq_u32 s2, 0
	v_mad_u64_u32 v[6:7], s[2:3], v12, s22, 0
	s_movk_i32 s0, 0x180
	v_lshlrev_b32_e32 v1, 2, v1
	s_cselect_b64 s[2:3], -1, 0
	v_mul_u32_u24_e32 v16, 0x180, v0
	v_lshlrev_b32_e32 v13, 2, v12
	v_mad_u32_u24 v18, v0, s0, v1
	v_mov_b32_e32 v0, v7
	v_cndmask_b32_e64 v1, 0, 1, s[2:3]
	v_add_co_u32_e32 v19, vcc, s20, v13
	v_mad_u64_u32 v[12:13], s[16:17], v12, s23, v[0:1]
	v_mov_b32_e32 v5, 0
	v_mov_b32_e32 v14, s21
	;; [unrolled: 1-line block ×3, first 2 shown]
	v_addc_co_u32_e32 v20, vcc, 0, v14, vcc
	v_lshlrev_b64 v[0:1], v1, v[4:5]
	v_lshlrev_b64 v[4:5], 2, v[6:7]
	v_add_co_u32_e32 v21, vcc, s20, v4
	v_addc_co_u32_e32 v22, vcc, v14, v5, vcc
	s_and_b64 s[2:3], s[2:3], exec
	s_mov_b32 s25, 0
	s_mov_b32 s27, s1
	v_cmp_neq_f32_e64 s[4:5], s26, 0
	v_lshl_or_b32 v17, v2, 3, v3
	s_cselect_b32 s33, 1, 2
	s_mov_b64 s[16:17], 0
	s_waitcnt vmcnt(0)
	v_subrev_co_u32_e32 v4, vcc, s1, v8
	v_subbrev_co_u32_e32 v5, vcc, 0, v9, vcc
	v_subrev_co_u32_e32 v6, vcc, s1, v10
	v_subbrev_co_u32_e32 v7, vcc, 0, v11, vcc
	v_cmp_lt_i64_e64 s[0:1], v[8:9], v[10:11]
	s_branch .LBB31_9
.LBB31_8:                               ;   in Loop: Header=BB31_9 Depth=1
	s_or_b64 exec, exec, s[2:3]
	s_add_u32 s16, s16, 32
	s_addc_u32 s17, s17, 0
	v_pk_mov_b32 v[8:9], s[18:19], s[18:19] op_sel:[0,1]
	v_cmp_lt_i64_e32 vcc, s[16:17], v[8:9]
	s_cbranch_vccz .LBB31_30
.LBB31_9:                               ; =>This Loop Header: Depth=1
                                        ;     Child Loop BB31_12 Depth 2
                                        ;       Child Loop BB31_16 Depth 3
	v_or_b32_e64 v9, s17, 0
	v_or_b32_e32 v8, s16, v2
	v_mov_b32_e32 v23, 0
	s_and_saveexec_b64 s[20:21], s[0:1]
	s_cbranch_execz .LBB31_18
; %bb.10:                               ;   in Loop: Header=BB31_9 Depth=1
	v_lshlrev_b64 v[10:11], 2, v[8:9]
	v_mov_b32_e32 v12, s15
	v_add_co_u32_e64 v24, s[2:3], s14, v10
	v_cmp_gt_i64_e32 vcc, s[18:19], v[8:9]
	v_addc_co_u32_e64 v25, s[2:3], v12, v11, s[2:3]
	s_mov_b64 s[28:29], 0
	v_mov_b32_e32 v23, 0
	v_pk_mov_b32 v[10:11], v[4:5], v[4:5] op_sel:[0,1]
	s_branch .LBB31_12
.LBB31_11:                              ;   in Loop: Header=BB31_12 Depth=2
	s_or_b64 exec, exec, s[30:31]
	v_add_co_u32_e64 v10, s[2:3], 32, v10
	v_addc_co_u32_e64 v11, s[2:3], 0, v11, s[2:3]
	v_cmp_ge_i64_e64 s[2:3], v[10:11], v[6:7]
	s_or_b64 s[28:29], s[2:3], s[28:29]
	s_andn2_b64 exec, exec, s[28:29]
	s_cbranch_execz .LBB31_17
.LBB31_12:                              ;   Parent Loop BB31_9 Depth=1
                                        ; =>  This Loop Header: Depth=2
                                        ;       Child Loop BB31_16 Depth 3
	v_add_co_u32_e64 v12, s[2:3], v10, v2
	v_addc_co_u32_e64 v13, s[2:3], 0, v11, s[2:3]
	v_cmp_lt_i64_e64 s[2:3], v[12:13], v[6:7]
	v_pk_mov_b32 v[14:15], 0, 0
	v_mov_b32_e32 v26, 0
	v_mov_b32_e32 v27, 0
	s_and_saveexec_b64 s[30:31], s[2:3]
	s_cbranch_execz .LBB31_14
; %bb.13:                               ;   in Loop: Header=BB31_12 Depth=2
	v_lshlrev_b64 v[14:15], 3, v[12:13]
	v_lshlrev_b64 v[12:13], 2, v[12:13]
	v_mov_b32_e32 v26, s11
	v_add_co_u32_e64 v14, s[2:3], s10, v14
	v_or_b32_e32 v13, v13, v1
	v_or_b32_e32 v12, v12, v0
	v_addc_co_u32_e64 v15, s[2:3], v26, v15, s[2:3]
	v_lshlrev_b64 v[26:27], 2, v[12:13]
	global_load_dwordx2 v[14:15], v[14:15], off
	v_mov_b32_e32 v30, s13
	v_add_co_u32_e64 v28, s[2:3], s12, v26
	v_or_b32_e32 v13, 0, v13
	v_or_b32_e32 v12, s33, v12
	v_addc_co_u32_e64 v29, s[2:3], v30, v27, s[2:3]
	v_lshlrev_b64 v[12:13], 2, v[12:13]
	v_add_co_u32_e64 v12, s[2:3], s12, v12
	v_addc_co_u32_e64 v13, s[2:3], v30, v13, s[2:3]
	global_load_dword v26, v[28:29], off
	global_load_dword v27, v[12:13], off
	v_mov_b32_e32 v13, s25
	s_waitcnt vmcnt(2)
	v_subrev_co_u32_e64 v12, s[2:3], s27, v14
	v_subb_co_u32_e64 v13, s[2:3], v15, v13, s[2:3]
	v_lshlrev_b64 v[14:15], 1, v[12:13]
.LBB31_14:                              ;   in Loop: Header=BB31_12 Depth=2
	s_or_b64 exec, exec, s[30:31]
	ds_write_b64 v17, v[14:15]
	s_waitcnt vmcnt(0)
	ds_write2_b32 v18, v26, v27 offset1:1
	s_waitcnt lgkmcnt(0)
	; wave barrier
	s_waitcnt lgkmcnt(0)
	s_and_saveexec_b64 s[30:31], vcc
	s_cbranch_execz .LBB31_11
; %bb.15:                               ;   in Loop: Header=BB31_12 Depth=2
	s_mov_b32 s34, 0
	v_mov_b32_e32 v12, v16
.LBB31_16:                              ;   Parent Loop BB31_9 Depth=1
                                        ;     Parent Loop BB31_12 Depth=2
                                        ; =>    This Inner Loop Header: Depth=3
	v_add_u32_e32 v13, s34, v3
	ds_read_b128 v[26:29], v13
	s_lshl_b64 s[36:37], s[6:7], 2
	v_mov_b32_e32 v13, s37
	s_add_i32 s34, s34, 16
	s_cmpk_lg_i32 s34, 0x100
	s_waitcnt lgkmcnt(0)
	v_mul_lo_u32 v30, v27, s6
	v_mul_lo_u32 v31, v26, s7
	v_mad_u64_u32 v[14:15], s[2:3], v26, s6, 0
	v_add3_u32 v15, v15, v31, v30
	v_mul_lo_u32 v29, v29, s6
	v_mul_lo_u32 v32, v28, s7
	v_mad_u64_u32 v[26:27], s[2:3], v28, s6, 0
	v_lshlrev_b64 v[14:15], 2, v[14:15]
	v_add3_u32 v27, v27, v32, v29
	v_add_co_u32_e64 v14, s[2:3], v24, v14
	v_lshlrev_b64 v[26:27], 2, v[26:27]
	v_addc_co_u32_e64 v15, s[2:3], v25, v15, s[2:3]
	v_add_co_u32_e64 v26, s[2:3], v24, v26
	v_addc_co_u32_e64 v27, s[2:3], v25, v27, s[2:3]
	v_add_co_u32_e64 v28, s[2:3], s36, v14
	;; [unrolled: 2-line block ×3, first 2 shown]
	v_addc_co_u32_e64 v31, s[2:3], v27, v13, s[2:3]
	global_load_dword v13, v[14:15], off
	global_load_dword v32, v[28:29], off
	;; [unrolled: 1-line block ×4, first 2 shown]
	ds_read_b64 v[14:15], v12
	ds_read2_b32 v[26:27], v12 offset0:3 offset1:4
	v_add_u32_e32 v12, 24, v12
	s_waitcnt vmcnt(3) lgkmcnt(1)
	v_fmac_f32_e32 v23, v14, v13
	s_waitcnt vmcnt(2)
	v_fmac_f32_e32 v23, v15, v32
	s_waitcnt vmcnt(1) lgkmcnt(0)
	v_fmac_f32_e32 v23, v26, v33
	s_waitcnt vmcnt(0)
	v_fmac_f32_e32 v23, v27, v34
	s_cbranch_scc1 .LBB31_16
	s_branch .LBB31_11
.LBB31_17:                              ;   in Loop: Header=BB31_9 Depth=1
	s_or_b64 exec, exec, s[28:29]
.LBB31_18:                              ;   in Loop: Header=BB31_9 Depth=1
	s_or_b64 exec, exec, s[20:21]
	v_cmp_gt_i64_e32 vcc, s[18:19], v[8:9]
	s_and_saveexec_b64 s[2:3], vcc
	s_cbranch_execz .LBB31_8
; %bb.19:                               ;   in Loop: Header=BB31_9 Depth=1
	s_mov_b64 s[20:21], -1
	s_and_b64 vcc, exec, s[4:5]
	s_cbranch_vccz .LBB31_25
; %bb.20:                               ;   in Loop: Header=BB31_9 Depth=1
	s_and_b64 vcc, exec, s[8:9]
	s_cbranch_vccz .LBB31_22
; %bb.21:                               ;   in Loop: Header=BB31_9 Depth=1
	v_lshlrev_b64 v[10:11], 2, v[8:9]
	v_add_co_u32_e32 v10, vcc, v21, v10
	v_addc_co_u32_e32 v11, vcc, v22, v11, vcc
	global_load_dword v12, v[10:11], off
	v_mul_f32_e32 v13, s24, v23
	s_mov_b64 s[20:21], 0
	s_waitcnt vmcnt(0)
	v_fmac_f32_e32 v13, s26, v12
	global_store_dword v[10:11], v13, off
.LBB31_22:                              ;   in Loop: Header=BB31_9 Depth=1
	s_andn2_b64 vcc, exec, s[20:21]
	s_cbranch_vccnz .LBB31_24
; %bb.23:                               ;   in Loop: Header=BB31_9 Depth=1
	v_mul_lo_u32 v12, v9, s22
	v_mul_lo_u32 v13, v8, s23
	v_mad_u64_u32 v[10:11], s[20:21], v8, s22, 0
	v_add3_u32 v11, v11, v13, v12
	v_lshlrev_b64 v[10:11], 2, v[10:11]
	v_add_co_u32_e32 v10, vcc, v19, v10
	v_addc_co_u32_e32 v11, vcc, v20, v11, vcc
	global_load_dword v12, v[10:11], off
	v_mul_f32_e32 v13, s24, v23
	s_waitcnt vmcnt(0)
	v_fmac_f32_e32 v13, s26, v12
	global_store_dword v[10:11], v13, off
.LBB31_24:                              ;   in Loop: Header=BB31_9 Depth=1
	s_mov_b64 s[20:21], 0
.LBB31_25:                              ;   in Loop: Header=BB31_9 Depth=1
	s_andn2_b64 vcc, exec, s[20:21]
	s_cbranch_vccnz .LBB31_8
; %bb.26:                               ;   in Loop: Header=BB31_9 Depth=1
	v_mul_f32_e32 v10, s24, v23
	s_mov_b64 s[20:21], -1
	s_and_b64 vcc, exec, s[8:9]
	s_cbranch_vccz .LBB31_28
; %bb.27:                               ;   in Loop: Header=BB31_9 Depth=1
	v_lshlrev_b64 v[12:13], 2, v[8:9]
	v_add_co_u32_e32 v12, vcc, v21, v12
	v_addc_co_u32_e32 v13, vcc, v22, v13, vcc
	global_store_dword v[12:13], v10, off
	s_mov_b64 s[20:21], 0
.LBB31_28:                              ;   in Loop: Header=BB31_9 Depth=1
	s_andn2_b64 vcc, exec, s[20:21]
	s_cbranch_vccnz .LBB31_8
; %bb.29:                               ;   in Loop: Header=BB31_9 Depth=1
	v_mul_lo_u32 v11, v9, s22
	v_mul_lo_u32 v12, v8, s23
	v_mad_u64_u32 v[8:9], s[20:21], v8, s22, 0
	v_add3_u32 v9, v9, v12, v11
	v_lshlrev_b64 v[8:9], 2, v[8:9]
	v_add_co_u32_e32 v8, vcc, v19, v8
	v_addc_co_u32_e32 v9, vcc, v20, v9, vcc
	global_store_dword v[8:9], v10, off
	s_branch .LBB31_8
.LBB31_30:
	s_endpgm
	.section	.rodata,"a",@progbits
	.p2align	6, 0x0
	.amdhsa_kernel _ZN9rocsparseL29bsrmmnt_small_blockdim_kernelILj64ELj32ELj2EllffffEEv20rocsparse_direction_T3_S2_llNS_24const_host_device_scalarIT7_EEPKT2_PKS2_PKT4_PKT5_llS5_PT6_ll16rocsparse_order_21rocsparse_index_base_b
		.amdhsa_group_segment_fixed_size 1280
		.amdhsa_private_segment_fixed_size 0
		.amdhsa_kernarg_size 400
		.amdhsa_user_sgpr_count 6
		.amdhsa_user_sgpr_private_segment_buffer 1
		.amdhsa_user_sgpr_dispatch_ptr 0
		.amdhsa_user_sgpr_queue_ptr 0
		.amdhsa_user_sgpr_kernarg_segment_ptr 1
		.amdhsa_user_sgpr_dispatch_id 0
		.amdhsa_user_sgpr_flat_scratch_init 0
		.amdhsa_user_sgpr_kernarg_preload_length 0
		.amdhsa_user_sgpr_kernarg_preload_offset 0
		.amdhsa_user_sgpr_private_segment_size 0
		.amdhsa_uses_dynamic_stack 0
		.amdhsa_system_sgpr_private_segment_wavefront_offset 0
		.amdhsa_system_sgpr_workgroup_id_x 1
		.amdhsa_system_sgpr_workgroup_id_y 0
		.amdhsa_system_sgpr_workgroup_id_z 0
		.amdhsa_system_sgpr_workgroup_info 0
		.amdhsa_system_vgpr_workitem_id 0
		.amdhsa_next_free_vgpr 35
		.amdhsa_next_free_sgpr 38
		.amdhsa_accum_offset 36
		.amdhsa_reserve_vcc 1
		.amdhsa_reserve_flat_scratch 0
		.amdhsa_float_round_mode_32 0
		.amdhsa_float_round_mode_16_64 0
		.amdhsa_float_denorm_mode_32 3
		.amdhsa_float_denorm_mode_16_64 3
		.amdhsa_dx10_clamp 1
		.amdhsa_ieee_mode 1
		.amdhsa_fp16_overflow 0
		.amdhsa_tg_split 0
		.amdhsa_exception_fp_ieee_invalid_op 0
		.amdhsa_exception_fp_denorm_src 0
		.amdhsa_exception_fp_ieee_div_zero 0
		.amdhsa_exception_fp_ieee_overflow 0
		.amdhsa_exception_fp_ieee_underflow 0
		.amdhsa_exception_fp_ieee_inexact 0
		.amdhsa_exception_int_div_zero 0
	.end_amdhsa_kernel
	.section	.text._ZN9rocsparseL29bsrmmnt_small_blockdim_kernelILj64ELj32ELj2EllffffEEv20rocsparse_direction_T3_S2_llNS_24const_host_device_scalarIT7_EEPKT2_PKS2_PKT4_PKT5_llS5_PT6_ll16rocsparse_order_21rocsparse_index_base_b,"axG",@progbits,_ZN9rocsparseL29bsrmmnt_small_blockdim_kernelILj64ELj32ELj2EllffffEEv20rocsparse_direction_T3_S2_llNS_24const_host_device_scalarIT7_EEPKT2_PKS2_PKT4_PKT5_llS5_PT6_ll16rocsparse_order_21rocsparse_index_base_b,comdat
.Lfunc_end31:
	.size	_ZN9rocsparseL29bsrmmnt_small_blockdim_kernelILj64ELj32ELj2EllffffEEv20rocsparse_direction_T3_S2_llNS_24const_host_device_scalarIT7_EEPKT2_PKS2_PKT4_PKT5_llS5_PT6_ll16rocsparse_order_21rocsparse_index_base_b, .Lfunc_end31-_ZN9rocsparseL29bsrmmnt_small_blockdim_kernelILj64ELj32ELj2EllffffEEv20rocsparse_direction_T3_S2_llNS_24const_host_device_scalarIT7_EEPKT2_PKS2_PKT4_PKT5_llS5_PT6_ll16rocsparse_order_21rocsparse_index_base_b
                                        ; -- End function
	.section	.AMDGPU.csdata,"",@progbits
; Kernel info:
; codeLenInByte = 1420
; NumSgprs: 42
; NumVgprs: 35
; NumAgprs: 0
; TotalNumVgprs: 35
; ScratchSize: 0
; MemoryBound: 0
; FloatMode: 240
; IeeeMode: 1
; LDSByteSize: 1280 bytes/workgroup (compile time only)
; SGPRBlocks: 5
; VGPRBlocks: 4
; NumSGPRsForWavesPerEU: 42
; NumVGPRsForWavesPerEU: 35
; AccumOffset: 36
; Occupancy: 8
; WaveLimiterHint : 1
; COMPUTE_PGM_RSRC2:SCRATCH_EN: 0
; COMPUTE_PGM_RSRC2:USER_SGPR: 6
; COMPUTE_PGM_RSRC2:TRAP_HANDLER: 0
; COMPUTE_PGM_RSRC2:TGID_X_EN: 1
; COMPUTE_PGM_RSRC2:TGID_Y_EN: 0
; COMPUTE_PGM_RSRC2:TGID_Z_EN: 0
; COMPUTE_PGM_RSRC2:TIDIG_COMP_CNT: 0
; COMPUTE_PGM_RSRC3_GFX90A:ACCUM_OFFSET: 8
; COMPUTE_PGM_RSRC3_GFX90A:TG_SPLIT: 0
	.section	.text._ZN9rocsparseL29bsrmmnt_small_blockdim_kernelILj64ELj64ELj2EllffffEEv20rocsparse_direction_T3_S2_llNS_24const_host_device_scalarIT7_EEPKT2_PKS2_PKT4_PKT5_llS5_PT6_ll16rocsparse_order_21rocsparse_index_base_b,"axG",@progbits,_ZN9rocsparseL29bsrmmnt_small_blockdim_kernelILj64ELj64ELj2EllffffEEv20rocsparse_direction_T3_S2_llNS_24const_host_device_scalarIT7_EEPKT2_PKS2_PKT4_PKT5_llS5_PT6_ll16rocsparse_order_21rocsparse_index_base_b,comdat
	.globl	_ZN9rocsparseL29bsrmmnt_small_blockdim_kernelILj64ELj64ELj2EllffffEEv20rocsparse_direction_T3_S2_llNS_24const_host_device_scalarIT7_EEPKT2_PKS2_PKT4_PKT5_llS5_PT6_ll16rocsparse_order_21rocsparse_index_base_b ; -- Begin function _ZN9rocsparseL29bsrmmnt_small_blockdim_kernelILj64ELj64ELj2EllffffEEv20rocsparse_direction_T3_S2_llNS_24const_host_device_scalarIT7_EEPKT2_PKS2_PKT4_PKT5_llS5_PT6_ll16rocsparse_order_21rocsparse_index_base_b
	.p2align	8
	.type	_ZN9rocsparseL29bsrmmnt_small_blockdim_kernelILj64ELj64ELj2EllffffEEv20rocsparse_direction_T3_S2_llNS_24const_host_device_scalarIT7_EEPKT2_PKS2_PKT4_PKT5_llS5_PT6_ll16rocsparse_order_21rocsparse_index_base_b,@function
_ZN9rocsparseL29bsrmmnt_small_blockdim_kernelILj64ELj64ELj2EllffffEEv20rocsparse_direction_T3_S2_llNS_24const_host_device_scalarIT7_EEPKT2_PKS2_PKT4_PKT5_llS5_PT6_ll16rocsparse_order_21rocsparse_index_base_b: ; @_ZN9rocsparseL29bsrmmnt_small_blockdim_kernelILj64ELj64ELj2EllffffEEv20rocsparse_direction_T3_S2_llNS_24const_host_device_scalarIT7_EEPKT2_PKS2_PKT4_PKT5_llS5_PT6_ll16rocsparse_order_21rocsparse_index_base_b
; %bb.0:
	s_load_dwordx4 s[0:3], s[4:5], 0x80
	s_load_dwordx2 s[24:25], s[4:5], 0x28
	s_load_dwordx2 s[26:27], s[4:5], 0x60
	s_waitcnt lgkmcnt(0)
	s_bitcmp1_b32 s2, 0
	s_cselect_b64 s[8:9], -1, 0
	s_xor_b64 s[2:3], s[8:9], -1
	s_and_b64 vcc, exec, s[8:9]
	s_cbranch_vccnz .LBB32_2
; %bb.1:
	s_load_dword s24, s[24:25], 0x0
.LBB32_2:
	s_andn2_b64 vcc, exec, s[2:3]
	s_cbranch_vccnz .LBB32_4
; %bb.3:
	s_load_dword s26, s[26:27], 0x0
.LBB32_4:
	s_waitcnt lgkmcnt(0)
	v_cmp_eq_f32_e64 s[2:3], s24, 0
	v_cmp_eq_f32_e64 s[8:9], s26, 1.0
	s_and_b64 s[2:3], s[2:3], s[8:9]
	s_and_b64 vcc, exec, s[2:3]
	s_cbranch_vccnz .LBB32_30
; %bb.5:
	s_load_dword s2, s[4:5], 0x9c
	s_load_dwordx4 s[16:19], s[4:5], 0x8
	v_mov_b32_e32 v3, 0
	s_waitcnt lgkmcnt(0)
	s_and_b32 s2, s2, 0xffff
	s_mul_i32 s6, s6, s2
	v_add_u32_e32 v1, s6, v0
	v_lshrrev_b32_e32 v2, 7, v1
	v_cmp_gt_i64_e32 vcc, s[16:17], v[2:3]
	s_and_saveexec_b64 s[2:3], vcc
	s_cbranch_execz .LBB32_30
; %bb.6:
	v_cmp_lt_i64_e64 s[2:3], s[18:19], 1
	s_and_b64 vcc, exec, s[2:3]
	s_cbranch_vccnz .LBB32_30
; %bb.7:
	s_load_dwordx8 s[8:15], s[4:5], 0x30
	v_lshlrev_b32_e32 v2, 3, v2
	v_lshrrev_b32_e32 v7, 6, v1
	s_cmp_lg_u32 s0, 1
	v_mul_u32_u24_e32 v4, 3, v0
	s_waitcnt lgkmcnt(0)
	global_load_dwordx4 v[8:11], v2, s[8:9]
	s_load_dword s2, s[4:5], 0x0
	s_load_dwordx4 s[20:23], s[4:5], 0x68
	s_load_dwordx2 s[6:7], s[4:5], 0x50
	s_cselect_b64 s[8:9], -1, 0
	v_lshlrev_b32_e32 v17, 2, v4
	s_waitcnt lgkmcnt(0)
	s_cmp_eq_u32 s2, 0
	v_mad_u64_u32 v[4:5], s[2:3], v7, s22, 0
	v_mov_b32_e32 v6, v5
	s_cselect_b64 s[2:3], -1, 0
	v_bfe_u32 v2, v1, 6, 1
	v_mov_b32_e32 v3, 0
	v_lshlrev_b32_e32 v12, 2, v7
	v_cndmask_b32_e64 v5, 0, 1, s[2:3]
	v_mad_u64_u32 v[6:7], s[16:17], v7, s23, v[6:7]
	v_mov_b32_e32 v13, s21
	v_add_co_u32_e32 v18, vcc, s20, v12
	v_lshlrev_b64 v[2:3], v5, v[2:3]
	v_mov_b32_e32 v5, v6
	v_addc_co_u32_e32 v19, vcc, 0, v13, vcc
	v_lshlrev_b64 v[4:5], 2, v[4:5]
	v_add_co_u32_e32 v20, vcc, s20, v4
	v_addc_co_u32_e32 v21, vcc, v13, v5, vcc
	v_mov_b32_e32 v1, 0x300
	s_and_b64 s[2:3], s[2:3], exec
	s_mov_b32 s25, 0
	s_mov_b32 s27, s1
	v_cmp_neq_f32_e64 s[4:5], s26, 0
	v_lshl_add_u32 v16, v0, 3, v1
	s_cselect_b32 s33, 1, 2
	s_mov_b64 s[16:17], 0
	s_waitcnt vmcnt(0)
	v_subrev_co_u32_e32 v4, vcc, s1, v8
	v_subbrev_co_u32_e32 v5, vcc, 0, v9, vcc
	v_subrev_co_u32_e32 v6, vcc, s1, v10
	v_subbrev_co_u32_e32 v7, vcc, 0, v11, vcc
	v_cmp_lt_i64_e64 s[0:1], v[8:9], v[10:11]
	s_branch .LBB32_9
.LBB32_8:                               ;   in Loop: Header=BB32_9 Depth=1
	s_or_b64 exec, exec, s[2:3]
	s_add_u32 s16, s16, 64
	s_addc_u32 s17, s17, 0
	v_pk_mov_b32 v[8:9], s[18:19], s[18:19] op_sel:[0,1]
	v_cmp_lt_i64_e32 vcc, s[16:17], v[8:9]
	s_cbranch_vccz .LBB32_30
.LBB32_9:                               ; =>This Loop Header: Depth=1
                                        ;     Child Loop BB32_12 Depth 2
                                        ;       Child Loop BB32_16 Depth 3
	v_or_b32_e64 v9, s17, 0
	v_or_b32_e32 v8, s16, v0
	v_mov_b32_e32 v22, 0
	s_and_saveexec_b64 s[20:21], s[0:1]
	s_cbranch_execz .LBB32_18
; %bb.10:                               ;   in Loop: Header=BB32_9 Depth=1
	v_lshlrev_b64 v[10:11], 2, v[8:9]
	v_mov_b32_e32 v12, s15
	v_add_co_u32_e64 v23, s[2:3], s14, v10
	v_cmp_gt_i64_e32 vcc, s[18:19], v[8:9]
	v_addc_co_u32_e64 v24, s[2:3], v12, v11, s[2:3]
	s_mov_b64 s[28:29], 0
	v_mov_b32_e32 v22, 0
	v_pk_mov_b32 v[10:11], v[4:5], v[4:5] op_sel:[0,1]
	s_branch .LBB32_12
.LBB32_11:                              ;   in Loop: Header=BB32_12 Depth=2
	s_or_b64 exec, exec, s[30:31]
	v_add_co_u32_e64 v10, s[2:3], 64, v10
	v_addc_co_u32_e64 v11, s[2:3], 0, v11, s[2:3]
	v_cmp_ge_i64_e64 s[2:3], v[10:11], v[6:7]
	s_or_b64 s[28:29], s[2:3], s[28:29]
	s_andn2_b64 exec, exec, s[28:29]
	s_cbranch_execz .LBB32_17
.LBB32_12:                              ;   Parent Loop BB32_9 Depth=1
                                        ; =>  This Loop Header: Depth=2
                                        ;       Child Loop BB32_16 Depth 3
	v_add_co_u32_e64 v12, s[2:3], v10, v0
	v_addc_co_u32_e64 v13, s[2:3], 0, v11, s[2:3]
	v_cmp_lt_i64_e64 s[2:3], v[12:13], v[6:7]
	v_pk_mov_b32 v[14:15], 0, 0
	v_mov_b32_e32 v25, 0
	v_mov_b32_e32 v26, 0
	s_and_saveexec_b64 s[30:31], s[2:3]
	s_cbranch_execz .LBB32_14
; %bb.13:                               ;   in Loop: Header=BB32_12 Depth=2
	v_lshlrev_b64 v[14:15], 3, v[12:13]
	v_lshlrev_b64 v[12:13], 2, v[12:13]
	v_mov_b32_e32 v25, s11
	v_add_co_u32_e64 v14, s[2:3], s10, v14
	v_or_b32_e32 v13, v13, v3
	v_or_b32_e32 v12, v12, v2
	v_addc_co_u32_e64 v15, s[2:3], v25, v15, s[2:3]
	v_lshlrev_b64 v[26:27], 2, v[12:13]
	global_load_dwordx2 v[14:15], v[14:15], off
	v_mov_b32_e32 v25, s13
	v_add_co_u32_e64 v28, s[2:3], s12, v26
	v_or_b32_e32 v13, 0, v13
	v_or_b32_e32 v12, s33, v12
	v_addc_co_u32_e64 v29, s[2:3], v25, v27, s[2:3]
	v_lshlrev_b64 v[12:13], 2, v[12:13]
	v_add_co_u32_e64 v12, s[2:3], s12, v12
	v_addc_co_u32_e64 v13, s[2:3], v25, v13, s[2:3]
	global_load_dword v25, v[28:29], off
	global_load_dword v26, v[12:13], off
	v_mov_b32_e32 v13, s25
	s_waitcnt vmcnt(2)
	v_subrev_co_u32_e64 v12, s[2:3], s27, v14
	v_subb_co_u32_e64 v13, s[2:3], v15, v13, s[2:3]
	v_lshlrev_b64 v[14:15], 1, v[12:13]
.LBB32_14:                              ;   in Loop: Header=BB32_12 Depth=2
	s_or_b64 exec, exec, s[30:31]
	ds_write_b64 v16, v[14:15]
	s_waitcnt vmcnt(0)
	ds_write2_b32 v17, v25, v26 offset1:1
	s_waitcnt lgkmcnt(0)
	; wave barrier
	s_waitcnt lgkmcnt(0)
	s_and_saveexec_b64 s[30:31], vcc
	s_cbranch_execz .LBB32_11
; %bb.15:                               ;   in Loop: Header=BB32_12 Depth=2
	s_mov_b32 s34, 0
	v_mov_b32_e32 v12, 0
.LBB32_16:                              ;   Parent Loop BB32_9 Depth=1
                                        ;     Parent Loop BB32_12 Depth=2
                                        ; =>    This Inner Loop Header: Depth=3
	v_add_u32_e32 v13, s34, v1
	ds_read_b128 v[26:29], v13
	s_lshl_b64 s[36:37], s[6:7], 2
	v_mov_b32_e32 v13, s37
	s_add_i32 s34, s34, 16
	s_cmpk_lg_i32 s34, 0x200
	s_waitcnt lgkmcnt(0)
	v_mul_lo_u32 v25, v27, s6
	v_mul_lo_u32 v30, v26, s7
	v_mad_u64_u32 v[14:15], s[2:3], v26, s6, 0
	v_add3_u32 v15, v15, v30, v25
	v_mul_lo_u32 v29, v29, s6
	v_mul_lo_u32 v31, v28, s7
	v_mad_u64_u32 v[26:27], s[2:3], v28, s6, 0
	v_lshlrev_b64 v[14:15], 2, v[14:15]
	v_add3_u32 v27, v27, v31, v29
	v_add_co_u32_e64 v14, s[2:3], v23, v14
	v_lshlrev_b64 v[26:27], 2, v[26:27]
	v_addc_co_u32_e64 v15, s[2:3], v24, v15, s[2:3]
	v_add_co_u32_e64 v26, s[2:3], v23, v26
	v_addc_co_u32_e64 v27, s[2:3], v24, v27, s[2:3]
	v_add_co_u32_e64 v28, s[2:3], s36, v14
	;; [unrolled: 2-line block ×3, first 2 shown]
	v_addc_co_u32_e64 v31, s[2:3], v27, v13, s[2:3]
	global_load_dword v13, v[14:15], off
	global_load_dword v25, v[28:29], off
	global_load_dword v32, v[26:27], off
	global_load_dword v33, v[30:31], off
	ds_read_b64 v[14:15], v12
	ds_read2_b32 v[26:27], v12 offset0:3 offset1:4
	v_add_u32_e32 v12, 24, v12
	s_waitcnt vmcnt(3) lgkmcnt(1)
	v_fmac_f32_e32 v22, v14, v13
	s_waitcnt vmcnt(2)
	v_fmac_f32_e32 v22, v15, v25
	s_waitcnt vmcnt(1) lgkmcnt(0)
	v_fmac_f32_e32 v22, v26, v32
	s_waitcnt vmcnt(0)
	v_fmac_f32_e32 v22, v27, v33
	s_cbranch_scc1 .LBB32_16
	s_branch .LBB32_11
.LBB32_17:                              ;   in Loop: Header=BB32_9 Depth=1
	s_or_b64 exec, exec, s[28:29]
.LBB32_18:                              ;   in Loop: Header=BB32_9 Depth=1
	s_or_b64 exec, exec, s[20:21]
	v_cmp_gt_i64_e32 vcc, s[18:19], v[8:9]
	s_and_saveexec_b64 s[2:3], vcc
	s_cbranch_execz .LBB32_8
; %bb.19:                               ;   in Loop: Header=BB32_9 Depth=1
	s_mov_b64 s[20:21], -1
	s_and_b64 vcc, exec, s[4:5]
	s_cbranch_vccz .LBB32_25
; %bb.20:                               ;   in Loop: Header=BB32_9 Depth=1
	s_and_b64 vcc, exec, s[8:9]
	s_cbranch_vccz .LBB32_22
; %bb.21:                               ;   in Loop: Header=BB32_9 Depth=1
	v_lshlrev_b64 v[10:11], 2, v[8:9]
	v_add_co_u32_e32 v10, vcc, v20, v10
	v_addc_co_u32_e32 v11, vcc, v21, v11, vcc
	global_load_dword v12, v[10:11], off
	v_mul_f32_e32 v13, s24, v22
	s_mov_b64 s[20:21], 0
	s_waitcnt vmcnt(0)
	v_fmac_f32_e32 v13, s26, v12
	global_store_dword v[10:11], v13, off
.LBB32_22:                              ;   in Loop: Header=BB32_9 Depth=1
	s_andn2_b64 vcc, exec, s[20:21]
	s_cbranch_vccnz .LBB32_24
; %bb.23:                               ;   in Loop: Header=BB32_9 Depth=1
	v_mul_lo_u32 v12, v9, s22
	v_mul_lo_u32 v13, v8, s23
	v_mad_u64_u32 v[10:11], s[20:21], v8, s22, 0
	v_add3_u32 v11, v11, v13, v12
	v_lshlrev_b64 v[10:11], 2, v[10:11]
	v_add_co_u32_e32 v10, vcc, v18, v10
	v_addc_co_u32_e32 v11, vcc, v19, v11, vcc
	global_load_dword v12, v[10:11], off
	v_mul_f32_e32 v13, s24, v22
	s_waitcnt vmcnt(0)
	v_fmac_f32_e32 v13, s26, v12
	global_store_dword v[10:11], v13, off
.LBB32_24:                              ;   in Loop: Header=BB32_9 Depth=1
	s_mov_b64 s[20:21], 0
.LBB32_25:                              ;   in Loop: Header=BB32_9 Depth=1
	s_andn2_b64 vcc, exec, s[20:21]
	s_cbranch_vccnz .LBB32_8
; %bb.26:                               ;   in Loop: Header=BB32_9 Depth=1
	v_mul_f32_e32 v10, s24, v22
	s_mov_b64 s[20:21], -1
	s_and_b64 vcc, exec, s[8:9]
	s_cbranch_vccz .LBB32_28
; %bb.27:                               ;   in Loop: Header=BB32_9 Depth=1
	v_lshlrev_b64 v[12:13], 2, v[8:9]
	v_add_co_u32_e32 v12, vcc, v20, v12
	v_addc_co_u32_e32 v13, vcc, v21, v13, vcc
	global_store_dword v[12:13], v10, off
	s_mov_b64 s[20:21], 0
.LBB32_28:                              ;   in Loop: Header=BB32_9 Depth=1
	s_andn2_b64 vcc, exec, s[20:21]
	s_cbranch_vccnz .LBB32_8
; %bb.29:                               ;   in Loop: Header=BB32_9 Depth=1
	v_mul_lo_u32 v11, v9, s22
	v_mul_lo_u32 v12, v8, s23
	v_mad_u64_u32 v[8:9], s[20:21], v8, s22, 0
	v_add3_u32 v9, v9, v12, v11
	v_lshlrev_b64 v[8:9], 2, v[8:9]
	v_add_co_u32_e32 v8, vcc, v18, v8
	v_addc_co_u32_e32 v9, vcc, v19, v9, vcc
	global_store_dword v[8:9], v10, off
	s_branch .LBB32_8
.LBB32_30:
	s_endpgm
	.section	.rodata,"a",@progbits
	.p2align	6, 0x0
	.amdhsa_kernel _ZN9rocsparseL29bsrmmnt_small_blockdim_kernelILj64ELj64ELj2EllffffEEv20rocsparse_direction_T3_S2_llNS_24const_host_device_scalarIT7_EEPKT2_PKS2_PKT4_PKT5_llS5_PT6_ll16rocsparse_order_21rocsparse_index_base_b
		.amdhsa_group_segment_fixed_size 1280
		.amdhsa_private_segment_fixed_size 0
		.amdhsa_kernarg_size 400
		.amdhsa_user_sgpr_count 6
		.amdhsa_user_sgpr_private_segment_buffer 1
		.amdhsa_user_sgpr_dispatch_ptr 0
		.amdhsa_user_sgpr_queue_ptr 0
		.amdhsa_user_sgpr_kernarg_segment_ptr 1
		.amdhsa_user_sgpr_dispatch_id 0
		.amdhsa_user_sgpr_flat_scratch_init 0
		.amdhsa_user_sgpr_kernarg_preload_length 0
		.amdhsa_user_sgpr_kernarg_preload_offset 0
		.amdhsa_user_sgpr_private_segment_size 0
		.amdhsa_uses_dynamic_stack 0
		.amdhsa_system_sgpr_private_segment_wavefront_offset 0
		.amdhsa_system_sgpr_workgroup_id_x 1
		.amdhsa_system_sgpr_workgroup_id_y 0
		.amdhsa_system_sgpr_workgroup_id_z 0
		.amdhsa_system_sgpr_workgroup_info 0
		.amdhsa_system_vgpr_workitem_id 0
		.amdhsa_next_free_vgpr 34
		.amdhsa_next_free_sgpr 38
		.amdhsa_accum_offset 36
		.amdhsa_reserve_vcc 1
		.amdhsa_reserve_flat_scratch 0
		.amdhsa_float_round_mode_32 0
		.amdhsa_float_round_mode_16_64 0
		.amdhsa_float_denorm_mode_32 3
		.amdhsa_float_denorm_mode_16_64 3
		.amdhsa_dx10_clamp 1
		.amdhsa_ieee_mode 1
		.amdhsa_fp16_overflow 0
		.amdhsa_tg_split 0
		.amdhsa_exception_fp_ieee_invalid_op 0
		.amdhsa_exception_fp_denorm_src 0
		.amdhsa_exception_fp_ieee_div_zero 0
		.amdhsa_exception_fp_ieee_overflow 0
		.amdhsa_exception_fp_ieee_underflow 0
		.amdhsa_exception_fp_ieee_inexact 0
		.amdhsa_exception_int_div_zero 0
	.end_amdhsa_kernel
	.section	.text._ZN9rocsparseL29bsrmmnt_small_blockdim_kernelILj64ELj64ELj2EllffffEEv20rocsparse_direction_T3_S2_llNS_24const_host_device_scalarIT7_EEPKT2_PKS2_PKT4_PKT5_llS5_PT6_ll16rocsparse_order_21rocsparse_index_base_b,"axG",@progbits,_ZN9rocsparseL29bsrmmnt_small_blockdim_kernelILj64ELj64ELj2EllffffEEv20rocsparse_direction_T3_S2_llNS_24const_host_device_scalarIT7_EEPKT2_PKS2_PKT4_PKT5_llS5_PT6_ll16rocsparse_order_21rocsparse_index_base_b,comdat
.Lfunc_end32:
	.size	_ZN9rocsparseL29bsrmmnt_small_blockdim_kernelILj64ELj64ELj2EllffffEEv20rocsparse_direction_T3_S2_llNS_24const_host_device_scalarIT7_EEPKT2_PKS2_PKT4_PKT5_llS5_PT6_ll16rocsparse_order_21rocsparse_index_base_b, .Lfunc_end32-_ZN9rocsparseL29bsrmmnt_small_blockdim_kernelILj64ELj64ELj2EllffffEEv20rocsparse_direction_T3_S2_llNS_24const_host_device_scalarIT7_EEPKT2_PKS2_PKT4_PKT5_llS5_PT6_ll16rocsparse_order_21rocsparse_index_base_b
                                        ; -- End function
	.section	.AMDGPU.csdata,"",@progbits
; Kernel info:
; codeLenInByte = 1384
; NumSgprs: 42
; NumVgprs: 34
; NumAgprs: 0
; TotalNumVgprs: 34
; ScratchSize: 0
; MemoryBound: 0
; FloatMode: 240
; IeeeMode: 1
; LDSByteSize: 1280 bytes/workgroup (compile time only)
; SGPRBlocks: 5
; VGPRBlocks: 4
; NumSGPRsForWavesPerEU: 42
; NumVGPRsForWavesPerEU: 34
; AccumOffset: 36
; Occupancy: 8
; WaveLimiterHint : 1
; COMPUTE_PGM_RSRC2:SCRATCH_EN: 0
; COMPUTE_PGM_RSRC2:USER_SGPR: 6
; COMPUTE_PGM_RSRC2:TRAP_HANDLER: 0
; COMPUTE_PGM_RSRC2:TGID_X_EN: 1
; COMPUTE_PGM_RSRC2:TGID_Y_EN: 0
; COMPUTE_PGM_RSRC2:TGID_Z_EN: 0
; COMPUTE_PGM_RSRC2:TIDIG_COMP_CNT: 0
; COMPUTE_PGM_RSRC3_GFX90A:ACCUM_OFFSET: 8
; COMPUTE_PGM_RSRC3_GFX90A:TG_SPLIT: 0
	.section	.text._ZN9rocsparseL29bsrmmnt_small_blockdim_kernelILj64ELj8ELj2EiiddddEEv20rocsparse_direction_T3_S2_llNS_24const_host_device_scalarIT7_EEPKT2_PKS2_PKT4_PKT5_llS5_PT6_ll16rocsparse_order_21rocsparse_index_base_b,"axG",@progbits,_ZN9rocsparseL29bsrmmnt_small_blockdim_kernelILj64ELj8ELj2EiiddddEEv20rocsparse_direction_T3_S2_llNS_24const_host_device_scalarIT7_EEPKT2_PKS2_PKT4_PKT5_llS5_PT6_ll16rocsparse_order_21rocsparse_index_base_b,comdat
	.globl	_ZN9rocsparseL29bsrmmnt_small_blockdim_kernelILj64ELj8ELj2EiiddddEEv20rocsparse_direction_T3_S2_llNS_24const_host_device_scalarIT7_EEPKT2_PKS2_PKT4_PKT5_llS5_PT6_ll16rocsparse_order_21rocsparse_index_base_b ; -- Begin function _ZN9rocsparseL29bsrmmnt_small_blockdim_kernelILj64ELj8ELj2EiiddddEEv20rocsparse_direction_T3_S2_llNS_24const_host_device_scalarIT7_EEPKT2_PKS2_PKT4_PKT5_llS5_PT6_ll16rocsparse_order_21rocsparse_index_base_b
	.p2align	8
	.type	_ZN9rocsparseL29bsrmmnt_small_blockdim_kernelILj64ELj8ELj2EiiddddEEv20rocsparse_direction_T3_S2_llNS_24const_host_device_scalarIT7_EEPKT2_PKS2_PKT4_PKT5_llS5_PT6_ll16rocsparse_order_21rocsparse_index_base_b,@function
_ZN9rocsparseL29bsrmmnt_small_blockdim_kernelILj64ELj8ELj2EiiddddEEv20rocsparse_direction_T3_S2_llNS_24const_host_device_scalarIT7_EEPKT2_PKS2_PKT4_PKT5_llS5_PT6_ll16rocsparse_order_21rocsparse_index_base_b: ; @_ZN9rocsparseL29bsrmmnt_small_blockdim_kernelILj64ELj8ELj2EiiddddEEv20rocsparse_direction_T3_S2_llNS_24const_host_device_scalarIT7_EEPKT2_PKS2_PKT4_PKT5_llS5_PT6_ll16rocsparse_order_21rocsparse_index_base_b
; %bb.0:
	s_load_dwordx4 s[16:19], s[4:5], 0x78
	s_load_dwordx2 s[8:9], s[4:5], 0x20
	s_load_dwordx2 s[0:1], s[4:5], 0x58
	s_waitcnt lgkmcnt(0)
	s_bitcmp1_b32 s18, 0
	s_cselect_b64 s[10:11], -1, 0
	s_xor_b64 s[2:3], s[10:11], -1
	s_and_b64 vcc, exec, s[10:11]
	v_pk_mov_b32 v[2:3], s[8:9], s[8:9] op_sel:[0,1]
	s_cbranch_vccnz .LBB33_2
; %bb.1:
	v_pk_mov_b32 v[2:3], s[8:9], s[8:9] op_sel:[0,1]
	flat_load_dwordx2 v[2:3], v[2:3]
.LBB33_2:
	s_andn2_b64 vcc, exec, s[2:3]
	v_pk_mov_b32 v[4:5], s[0:1], s[0:1] op_sel:[0,1]
	s_cbranch_vccnz .LBB33_4
; %bb.3:
	v_pk_mov_b32 v[4:5], s[0:1], s[0:1] op_sel:[0,1]
	flat_load_dwordx2 v[4:5], v[4:5]
.LBB33_4:
	s_waitcnt vmcnt(0) lgkmcnt(0)
	v_cmp_neq_f64_e32 vcc, 0, v[2:3]
	v_cmp_neq_f64_e64 s[0:1], 1.0, v[4:5]
	s_or_b64 s[0:1], vcc, s[0:1]
	s_and_saveexec_b64 s[2:3], s[0:1]
	s_cbranch_execz .LBB33_29
; %bb.5:
	s_load_dword s0, s[4:5], 0x94
	s_load_dwordx4 s[20:23], s[4:5], 0x0
	s_waitcnt lgkmcnt(0)
	s_and_b32 s0, s0, 0xffff
	s_mul_i32 s6, s6, s0
	v_add_u32_e32 v1, s6, v0
	v_lshrrev_b32_e32 v6, 4, v1
	v_cmp_gt_i32_e32 vcc, s21, v6
	s_and_b64 exec, exec, vcc
	s_cbranch_execz .LBB33_29
; %bb.6:
	s_cmp_lt_i32 s22, 1
	s_cbranch_scc1 .LBB33_29
; %bb.7:
	s_load_dwordx8 s[8:15], s[4:5], 0x28
	v_lshlrev_b32_e32 v6, 2, v6
	v_and_b32_e32 v18, 7, v0
	s_cmp_lg_u32 s16, 1
	v_lshrrev_b32_e32 v9, 3, v1
	s_waitcnt lgkmcnt(0)
	global_load_dwordx2 v[6:7], v6, s[8:9]
	s_load_dwordx4 s[24:27], s[4:5], 0x60
	s_load_dwordx2 s[6:7], s[4:5], 0x48
	v_bfe_u32 v8, v1, 3, 1
	v_and_b32_e32 v11, -8, v1
	s_cselect_b64 s[8:9], -1, 0
	s_cmp_eq_u32 s20, 0
	v_mul_u32_u24_e32 v1, 3, v18
	v_lshrrev_b32_e32 v0, 3, v0
	v_mov_b32_e32 v10, 0x600
	s_movk_i32 s4, 0xc0
	v_lshlrev_b32_e32 v1, 3, v1
	s_cselect_b64 s[2:3], -1, 0
	v_lshl_or_b32 v19, v0, 5, v10
	v_mul_u32_u24_e32 v20, 0xc0, v0
	v_cndmask_b32_e64 v10, 0, 1, s[2:3]
	v_mad_u32_u24 v22, v0, s4, v1
	s_and_b64 s[2:3], s[2:3], exec
	s_waitcnt lgkmcnt(0)
	v_mad_u64_u32 v[0:1], s[2:3], v9, s26, 0
	v_lshlrev_b32_e32 v23, v10, v8
	v_mov_b32_e32 v8, v1
	v_mad_u64_u32 v[8:9], s[2:3], v9, s27, v[8:9]
	v_mov_b32_e32 v10, s25
	v_add_co_u32_e32 v24, vcc, s24, v11
	v_mov_b32_e32 v1, v8
	v_addc_co_u32_e32 v25, vcc, 0, v10, vcc
	v_lshlrev_b64 v[0:1], 3, v[0:1]
	v_add_co_u32_e32 v26, vcc, s24, v0
	s_mov_b32 s16, 0
	v_cmp_neq_f64_e64 s[0:1], 0, v[4:5]
	v_lshl_or_b32 v21, v18, 2, v19
	s_cselect_b32 s23, 1, 2
	v_addc_co_u32_e32 v27, vcc, v10, v1, vcc
	v_mov_b32_e32 v1, 0
	s_waitcnt vmcnt(0)
	v_subrev_u32_e32 v28, s17, v6
	v_subrev_u32_e32 v29, s17, v7
	v_cmp_lt_i32_e64 s[2:3], v6, v7
	s_branch .LBB33_9
.LBB33_8:                               ;   in Loop: Header=BB33_9 Depth=1
	s_or_b64 exec, exec, s[4:5]
	s_add_i32 s16, s16, 8
	s_cmp_lt_i32 s16, s22
	s_cbranch_scc0 .LBB33_29
.LBB33_9:                               ; =>This Loop Header: Depth=1
                                        ;     Child Loop BB33_12 Depth 2
                                        ;       Child Loop BB33_16 Depth 3
	v_or_b32_e32 v6, s16, v18
	v_pk_mov_b32 v[8:9], 0, 0
	v_ashrrev_i32_e32 v7, 31, v6
	s_and_saveexec_b64 s[18:19], s[2:3]
	s_cbranch_execz .LBB33_18
; %bb.10:                               ;   in Loop: Header=BB33_9 Depth=1
	v_lshlrev_b64 v[8:9], 3, v[6:7]
	v_mov_b32_e32 v0, s15
	v_add_co_u32_e64 v30, s[4:5], s14, v8
	v_pk_mov_b32 v[10:11], 0, 0
	v_cmp_gt_i32_e32 vcc, s22, v6
	v_addc_co_u32_e64 v31, s[4:5], v0, v9, s[4:5]
	s_mov_b64 s[20:21], 0
	v_mov_b32_e32 v32, v28
	v_pk_mov_b32 v[8:9], v[10:11], v[10:11] op_sel:[0,1]
	s_branch .LBB33_12
.LBB33_11:                              ;   in Loop: Header=BB33_12 Depth=2
	s_or_b64 exec, exec, s[24:25]
	v_add_u32_e32 v32, 8, v32
	v_cmp_ge_i32_e64 s[4:5], v32, v29
	s_or_b64 s[20:21], s[4:5], s[20:21]
	s_andn2_b64 exec, exec, s[20:21]
	s_cbranch_execz .LBB33_17
.LBB33_12:                              ;   Parent Loop BB33_9 Depth=1
                                        ; =>  This Loop Header: Depth=2
                                        ;       Child Loop BB33_16 Depth 3
	v_add_u32_e32 v16, v32, v18
	v_cmp_lt_i32_e64 s[4:5], v16, v29
	v_mov_b32_e32 v0, 0
	v_pk_mov_b32 v[12:13], v[10:11], v[10:11] op_sel:[0,1]
	v_pk_mov_b32 v[14:15], v[10:11], v[10:11] op_sel:[0,1]
	s_and_saveexec_b64 s[24:25], s[4:5]
	s_cbranch_execz .LBB33_14
; %bb.13:                               ;   in Loop: Header=BB33_12 Depth=2
	v_ashrrev_i32_e32 v17, 31, v16
	v_lshlrev_b64 v[12:13], 2, v[16:17]
	v_mov_b32_e32 v0, s11
	v_add_co_u32_e64 v12, s[4:5], s10, v12
	v_addc_co_u32_e64 v13, s[4:5], v0, v13, s[4:5]
	v_lshl_or_b32 v0, v16, 2, v23
	global_load_dword v33, v[12:13], off
	v_lshlrev_b64 v[12:13], 3, v[0:1]
	v_mov_b32_e32 v14, s13
	v_add_co_u32_e64 v16, s[4:5], s12, v12
	v_or_b32_e32 v0, s23, v0
	v_addc_co_u32_e64 v17, s[4:5], v14, v13, s[4:5]
	v_lshlrev_b64 v[12:13], 3, v[0:1]
	v_add_co_u32_e64 v34, s[4:5], s12, v12
	v_addc_co_u32_e64 v35, s[4:5], v14, v13, s[4:5]
	global_load_dwordx2 v[12:13], v[16:17], off
	global_load_dwordx2 v[14:15], v[34:35], off
	s_waitcnt vmcnt(2)
	v_subrev_u32_e32 v0, s17, v33
	v_lshlrev_b32_e32 v0, 1, v0
.LBB33_14:                              ;   in Loop: Header=BB33_12 Depth=2
	s_or_b64 exec, exec, s[24:25]
	ds_write_b32 v21, v0
	s_waitcnt vmcnt(0)
	ds_write2_b64 v22, v[12:13], v[14:15] offset1:1
	s_waitcnt lgkmcnt(0)
	; wave barrier
	s_waitcnt lgkmcnt(0)
	s_and_saveexec_b64 s[24:25], vcc
	s_cbranch_execz .LBB33_11
; %bb.15:                               ;   in Loop: Header=BB33_12 Depth=2
	s_mov_b32 s28, 0
	v_mov_b32_e32 v0, v20
.LBB33_16:                              ;   Parent Loop BB33_9 Depth=1
                                        ;     Parent Loop BB33_12 Depth=2
                                        ; =>    This Inner Loop Header: Depth=3
	v_add_u32_e32 v12, s28, v19
	ds_read_b64 v[12:13], v12
	s_add_i32 s28, s28, 8
	s_cmp_lg_u32 s28, 32
	s_waitcnt lgkmcnt(0)
	v_ashrrev_i32_e32 v33, 31, v12
	v_mul_lo_u32 v36, v12, s7
	v_mad_u64_u32 v[14:15], s[4:5], v12, s6, 0
	v_mul_lo_u32 v33, v33, s6
	v_add_u32_e32 v12, 1, v12
	v_ashrrev_i32_e32 v34, 31, v13
	v_add_u32_e32 v35, 1, v13
	v_add3_u32 v15, v15, v36, v33
	v_mul_lo_u32 v37, v13, s7
	v_mad_u64_u32 v[16:17], s[4:5], v13, s6, 0
	v_ashrrev_i32_e32 v38, 31, v12
	v_mul_lo_u32 v39, v12, s7
	v_mad_u64_u32 v[12:13], s[4:5], v12, s6, 0
	v_mul_lo_u32 v40, v34, s6
	v_ashrrev_i32_e32 v41, 31, v35
	v_mul_lo_u32 v42, v35, s7
	v_mad_u64_u32 v[34:35], s[4:5], v35, s6, 0
	v_lshlrev_b64 v[14:15], 3, v[14:15]
	v_add3_u32 v17, v17, v37, v40
	v_add_co_u32_e64 v14, s[4:5], v30, v14
	v_mul_lo_u32 v33, v38, s6
	v_lshlrev_b64 v[16:17], 3, v[16:17]
	v_addc_co_u32_e64 v15, s[4:5], v31, v15, s[4:5]
	v_add3_u32 v13, v13, v39, v33
	v_add_co_u32_e64 v16, s[4:5], v30, v16
	v_mul_lo_u32 v36, v41, s6
	v_lshlrev_b64 v[12:13], 3, v[12:13]
	v_addc_co_u32_e64 v17, s[4:5], v31, v17, s[4:5]
	v_add3_u32 v35, v35, v42, v36
	v_add_co_u32_e64 v12, s[4:5], v30, v12
	v_lshlrev_b64 v[34:35], 3, v[34:35]
	v_addc_co_u32_e64 v13, s[4:5], v31, v13, s[4:5]
	v_add_co_u32_e64 v34, s[4:5], v30, v34
	v_addc_co_u32_e64 v35, s[4:5], v31, v35, s[4:5]
	global_load_dwordx2 v[38:39], v[14:15], off
	global_load_dwordx2 v[40:41], v[12:13], off
	;; [unrolled: 1-line block ×4, first 2 shown]
	ds_read_b128 v[12:15], v0
	ds_read2_b64 v[34:37], v0 offset0:3 offset1:4
	v_add_u32_e32 v0, 48, v0
	s_waitcnt vmcnt(3) lgkmcnt(1)
	v_fmac_f64_e32 v[8:9], v[12:13], v[38:39]
	s_waitcnt vmcnt(2)
	v_fmac_f64_e32 v[8:9], v[14:15], v[40:41]
	s_waitcnt vmcnt(1) lgkmcnt(0)
	v_fmac_f64_e32 v[8:9], v[34:35], v[42:43]
	s_waitcnt vmcnt(0)
	v_fmac_f64_e32 v[8:9], v[36:37], v[44:45]
	s_cbranch_scc1 .LBB33_16
	s_branch .LBB33_11
.LBB33_17:                              ;   in Loop: Header=BB33_9 Depth=1
	s_or_b64 exec, exec, s[20:21]
.LBB33_18:                              ;   in Loop: Header=BB33_9 Depth=1
	s_or_b64 exec, exec, s[18:19]
	v_cmp_gt_i32_e32 vcc, s22, v6
	s_and_saveexec_b64 s[4:5], vcc
	s_cbranch_execz .LBB33_8
; %bb.19:                               ;   in Loop: Header=BB33_9 Depth=1
	s_and_saveexec_b64 s[18:19], s[0:1]
	s_xor_b64 s[18:19], exec, s[18:19]
	s_cbranch_execz .LBB33_24
; %bb.20:                               ;   in Loop: Header=BB33_9 Depth=1
	s_mov_b64 s[20:21], -1
	s_and_b64 vcc, exec, s[8:9]
	s_cbranch_vccz .LBB33_22
; %bb.21:                               ;   in Loop: Header=BB33_9 Depth=1
	v_lshlrev_b64 v[10:11], 3, v[6:7]
	v_add_co_u32_e32 v10, vcc, v26, v10
	v_addc_co_u32_e32 v11, vcc, v27, v11, vcc
	global_load_dwordx2 v[12:13], v[10:11], off
	v_mul_f64 v[14:15], v[2:3], v[8:9]
	s_mov_b64 s[20:21], 0
	s_waitcnt vmcnt(0)
	v_fmac_f64_e32 v[14:15], v[4:5], v[12:13]
	global_store_dwordx2 v[10:11], v[14:15], off
.LBB33_22:                              ;   in Loop: Header=BB33_9 Depth=1
	s_andn2_b64 vcc, exec, s[20:21]
	s_cbranch_vccnz .LBB33_24
; %bb.23:                               ;   in Loop: Header=BB33_9 Depth=1
	v_mul_lo_u32 v0, v7, s26
	v_mul_lo_u32 v10, v6, s27
	v_mad_u64_u32 v[6:7], s[20:21], v6, s26, 0
	v_add3_u32 v7, v7, v10, v0
	v_lshlrev_b64 v[6:7], 3, v[6:7]
	v_add_co_u32_e32 v6, vcc, v24, v6
	v_addc_co_u32_e32 v7, vcc, v25, v7, vcc
	global_load_dwordx2 v[10:11], v[6:7], off
	v_mul_f64 v[8:9], v[2:3], v[8:9]
	s_waitcnt vmcnt(0)
	v_fmac_f64_e32 v[8:9], v[4:5], v[10:11]
	global_store_dwordx2 v[6:7], v[8:9], off
                                        ; implicit-def: $vgpr8_vgpr9
                                        ; implicit-def: $vgpr6
.LBB33_24:                              ;   in Loop: Header=BB33_9 Depth=1
	s_andn2_saveexec_b64 s[18:19], s[18:19]
	s_cbranch_execz .LBB33_8
; %bb.25:                               ;   in Loop: Header=BB33_9 Depth=1
	v_mul_f64 v[8:9], v[2:3], v[8:9]
	s_mov_b64 s[18:19], -1
	s_and_b64 vcc, exec, s[8:9]
	s_cbranch_vccz .LBB33_27
; %bb.26:                               ;   in Loop: Header=BB33_9 Depth=1
	v_lshlrev_b64 v[10:11], 3, v[6:7]
	v_add_co_u32_e32 v10, vcc, v26, v10
	v_addc_co_u32_e32 v11, vcc, v27, v11, vcc
	global_store_dwordx2 v[10:11], v[8:9], off
	s_mov_b64 s[18:19], 0
.LBB33_27:                              ;   in Loop: Header=BB33_9 Depth=1
	s_andn2_b64 vcc, exec, s[18:19]
	s_cbranch_vccnz .LBB33_8
; %bb.28:                               ;   in Loop: Header=BB33_9 Depth=1
	v_mul_lo_u32 v0, v7, s26
	v_mul_lo_u32 v10, v6, s27
	v_mad_u64_u32 v[6:7], s[18:19], v6, s26, 0
	v_add3_u32 v7, v7, v10, v0
	v_lshlrev_b64 v[6:7], 3, v[6:7]
	v_add_co_u32_e32 v6, vcc, v24, v6
	v_addc_co_u32_e32 v7, vcc, v25, v7, vcc
	global_store_dwordx2 v[6:7], v[8:9], off
	s_branch .LBB33_8
.LBB33_29:
	s_endpgm
	.section	.rodata,"a",@progbits
	.p2align	6, 0x0
	.amdhsa_kernel _ZN9rocsparseL29bsrmmnt_small_blockdim_kernelILj64ELj8ELj2EiiddddEEv20rocsparse_direction_T3_S2_llNS_24const_host_device_scalarIT7_EEPKT2_PKS2_PKT4_PKT5_llS5_PT6_ll16rocsparse_order_21rocsparse_index_base_b
		.amdhsa_group_segment_fixed_size 1792
		.amdhsa_private_segment_fixed_size 0
		.amdhsa_kernarg_size 392
		.amdhsa_user_sgpr_count 6
		.amdhsa_user_sgpr_private_segment_buffer 1
		.amdhsa_user_sgpr_dispatch_ptr 0
		.amdhsa_user_sgpr_queue_ptr 0
		.amdhsa_user_sgpr_kernarg_segment_ptr 1
		.amdhsa_user_sgpr_dispatch_id 0
		.amdhsa_user_sgpr_flat_scratch_init 0
		.amdhsa_user_sgpr_kernarg_preload_length 0
		.amdhsa_user_sgpr_kernarg_preload_offset 0
		.amdhsa_user_sgpr_private_segment_size 0
		.amdhsa_uses_dynamic_stack 0
		.amdhsa_system_sgpr_private_segment_wavefront_offset 0
		.amdhsa_system_sgpr_workgroup_id_x 1
		.amdhsa_system_sgpr_workgroup_id_y 0
		.amdhsa_system_sgpr_workgroup_id_z 0
		.amdhsa_system_sgpr_workgroup_info 0
		.amdhsa_system_vgpr_workitem_id 0
		.amdhsa_next_free_vgpr 46
		.amdhsa_next_free_sgpr 29
		.amdhsa_accum_offset 48
		.amdhsa_reserve_vcc 1
		.amdhsa_reserve_flat_scratch 0
		.amdhsa_float_round_mode_32 0
		.amdhsa_float_round_mode_16_64 0
		.amdhsa_float_denorm_mode_32 3
		.amdhsa_float_denorm_mode_16_64 3
		.amdhsa_dx10_clamp 1
		.amdhsa_ieee_mode 1
		.amdhsa_fp16_overflow 0
		.amdhsa_tg_split 0
		.amdhsa_exception_fp_ieee_invalid_op 0
		.amdhsa_exception_fp_denorm_src 0
		.amdhsa_exception_fp_ieee_div_zero 0
		.amdhsa_exception_fp_ieee_overflow 0
		.amdhsa_exception_fp_ieee_underflow 0
		.amdhsa_exception_fp_ieee_inexact 0
		.amdhsa_exception_int_div_zero 0
	.end_amdhsa_kernel
	.section	.text._ZN9rocsparseL29bsrmmnt_small_blockdim_kernelILj64ELj8ELj2EiiddddEEv20rocsparse_direction_T3_S2_llNS_24const_host_device_scalarIT7_EEPKT2_PKS2_PKT4_PKT5_llS5_PT6_ll16rocsparse_order_21rocsparse_index_base_b,"axG",@progbits,_ZN9rocsparseL29bsrmmnt_small_blockdim_kernelILj64ELj8ELj2EiiddddEEv20rocsparse_direction_T3_S2_llNS_24const_host_device_scalarIT7_EEPKT2_PKS2_PKT4_PKT5_llS5_PT6_ll16rocsparse_order_21rocsparse_index_base_b,comdat
.Lfunc_end33:
	.size	_ZN9rocsparseL29bsrmmnt_small_blockdim_kernelILj64ELj8ELj2EiiddddEEv20rocsparse_direction_T3_S2_llNS_24const_host_device_scalarIT7_EEPKT2_PKS2_PKT4_PKT5_llS5_PT6_ll16rocsparse_order_21rocsparse_index_base_b, .Lfunc_end33-_ZN9rocsparseL29bsrmmnt_small_blockdim_kernelILj64ELj8ELj2EiiddddEEv20rocsparse_direction_T3_S2_llNS_24const_host_device_scalarIT7_EEPKT2_PKS2_PKT4_PKT5_llS5_PT6_ll16rocsparse_order_21rocsparse_index_base_b
                                        ; -- End function
	.section	.AMDGPU.csdata,"",@progbits
; Kernel info:
; codeLenInByte = 1464
; NumSgprs: 33
; NumVgprs: 46
; NumAgprs: 0
; TotalNumVgprs: 46
; ScratchSize: 0
; MemoryBound: 0
; FloatMode: 240
; IeeeMode: 1
; LDSByteSize: 1792 bytes/workgroup (compile time only)
; SGPRBlocks: 4
; VGPRBlocks: 5
; NumSGPRsForWavesPerEU: 33
; NumVGPRsForWavesPerEU: 46
; AccumOffset: 48
; Occupancy: 8
; WaveLimiterHint : 1
; COMPUTE_PGM_RSRC2:SCRATCH_EN: 0
; COMPUTE_PGM_RSRC2:USER_SGPR: 6
; COMPUTE_PGM_RSRC2:TRAP_HANDLER: 0
; COMPUTE_PGM_RSRC2:TGID_X_EN: 1
; COMPUTE_PGM_RSRC2:TGID_Y_EN: 0
; COMPUTE_PGM_RSRC2:TGID_Z_EN: 0
; COMPUTE_PGM_RSRC2:TIDIG_COMP_CNT: 0
; COMPUTE_PGM_RSRC3_GFX90A:ACCUM_OFFSET: 11
; COMPUTE_PGM_RSRC3_GFX90A:TG_SPLIT: 0
	.section	.text._ZN9rocsparseL29bsrmmnt_small_blockdim_kernelILj64ELj16ELj2EiiddddEEv20rocsparse_direction_T3_S2_llNS_24const_host_device_scalarIT7_EEPKT2_PKS2_PKT4_PKT5_llS5_PT6_ll16rocsparse_order_21rocsparse_index_base_b,"axG",@progbits,_ZN9rocsparseL29bsrmmnt_small_blockdim_kernelILj64ELj16ELj2EiiddddEEv20rocsparse_direction_T3_S2_llNS_24const_host_device_scalarIT7_EEPKT2_PKS2_PKT4_PKT5_llS5_PT6_ll16rocsparse_order_21rocsparse_index_base_b,comdat
	.globl	_ZN9rocsparseL29bsrmmnt_small_blockdim_kernelILj64ELj16ELj2EiiddddEEv20rocsparse_direction_T3_S2_llNS_24const_host_device_scalarIT7_EEPKT2_PKS2_PKT4_PKT5_llS5_PT6_ll16rocsparse_order_21rocsparse_index_base_b ; -- Begin function _ZN9rocsparseL29bsrmmnt_small_blockdim_kernelILj64ELj16ELj2EiiddddEEv20rocsparse_direction_T3_S2_llNS_24const_host_device_scalarIT7_EEPKT2_PKS2_PKT4_PKT5_llS5_PT6_ll16rocsparse_order_21rocsparse_index_base_b
	.p2align	8
	.type	_ZN9rocsparseL29bsrmmnt_small_blockdim_kernelILj64ELj16ELj2EiiddddEEv20rocsparse_direction_T3_S2_llNS_24const_host_device_scalarIT7_EEPKT2_PKS2_PKT4_PKT5_llS5_PT6_ll16rocsparse_order_21rocsparse_index_base_b,@function
_ZN9rocsparseL29bsrmmnt_small_blockdim_kernelILj64ELj16ELj2EiiddddEEv20rocsparse_direction_T3_S2_llNS_24const_host_device_scalarIT7_EEPKT2_PKS2_PKT4_PKT5_llS5_PT6_ll16rocsparse_order_21rocsparse_index_base_b: ; @_ZN9rocsparseL29bsrmmnt_small_blockdim_kernelILj64ELj16ELj2EiiddddEEv20rocsparse_direction_T3_S2_llNS_24const_host_device_scalarIT7_EEPKT2_PKS2_PKT4_PKT5_llS5_PT6_ll16rocsparse_order_21rocsparse_index_base_b
; %bb.0:
	s_load_dwordx4 s[16:19], s[4:5], 0x78
	s_load_dwordx2 s[8:9], s[4:5], 0x20
	s_load_dwordx2 s[0:1], s[4:5], 0x58
	s_waitcnt lgkmcnt(0)
	s_bitcmp1_b32 s18, 0
	s_cselect_b64 s[10:11], -1, 0
	s_xor_b64 s[2:3], s[10:11], -1
	s_and_b64 vcc, exec, s[10:11]
	v_pk_mov_b32 v[2:3], s[8:9], s[8:9] op_sel:[0,1]
	s_cbranch_vccnz .LBB34_2
; %bb.1:
	v_pk_mov_b32 v[2:3], s[8:9], s[8:9] op_sel:[0,1]
	flat_load_dwordx2 v[2:3], v[2:3]
.LBB34_2:
	s_andn2_b64 vcc, exec, s[2:3]
	v_pk_mov_b32 v[4:5], s[0:1], s[0:1] op_sel:[0,1]
	s_cbranch_vccnz .LBB34_4
; %bb.3:
	v_pk_mov_b32 v[4:5], s[0:1], s[0:1] op_sel:[0,1]
	flat_load_dwordx2 v[4:5], v[4:5]
.LBB34_4:
	s_waitcnt vmcnt(0) lgkmcnt(0)
	v_cmp_neq_f64_e32 vcc, 0, v[2:3]
	v_cmp_neq_f64_e64 s[0:1], 1.0, v[4:5]
	s_or_b64 s[0:1], vcc, s[0:1]
	s_and_saveexec_b64 s[2:3], s[0:1]
	s_cbranch_execz .LBB34_29
; %bb.5:
	s_load_dword s0, s[4:5], 0x94
	s_load_dwordx4 s[20:23], s[4:5], 0x0
	s_waitcnt lgkmcnt(0)
	s_and_b32 s0, s0, 0xffff
	s_mul_i32 s6, s6, s0
	v_add_u32_e32 v1, s6, v0
	v_lshrrev_b32_e32 v6, 5, v1
	v_cmp_gt_i32_e32 vcc, s21, v6
	s_and_b64 exec, exec, vcc
	s_cbranch_execz .LBB34_29
; %bb.6:
	s_cmp_lt_i32 s22, 1
	s_cbranch_scc1 .LBB34_29
; %bb.7:
	s_load_dwordx8 s[8:15], s[4:5], 0x28
	v_lshlrev_b32_e32 v6, 2, v6
	s_cmp_lg_u32 s16, 1
	v_and_b32_e32 v18, 15, v0
	v_lshrrev_b32_e32 v0, 4, v0
	s_waitcnt lgkmcnt(0)
	global_load_dwordx2 v[6:7], v6, s[8:9]
	s_load_dwordx4 s[24:27], s[4:5], 0x60
	s_load_dwordx2 s[6:7], s[4:5], 0x48
	v_mov_b32_e32 v8, 0x600
	s_cselect_b64 s[8:9], -1, 0
	s_cmp_eq_u32 s20, 0
	v_lshl_or_b32 v19, v0, 6, v8
	v_mul_u32_u24_e32 v8, 3, v18
	s_cselect_b64 s[2:3], -1, 0
	v_lshrrev_b32_e32 v9, 4, v1
	v_bfe_u32 v1, v1, 4, 1
	s_movk_i32 s4, 0x180
	v_lshlrev_b32_e32 v8, 3, v8
	v_cndmask_b32_e64 v11, 0, 1, s[2:3]
	v_mul_u32_u24_e32 v20, 0x180, v0
	v_mad_u32_u24 v22, v0, s4, v8
	s_and_b64 s[2:3], s[2:3], exec
	v_lshlrev_b32_e32 v23, v11, v1
	s_waitcnt lgkmcnt(0)
	v_mad_u64_u32 v[0:1], s[2:3], v9, s26, 0
	v_mov_b32_e32 v8, v1
	v_lshlrev_b32_e32 v10, 3, v9
	v_mad_u64_u32 v[8:9], s[2:3], v9, s27, v[8:9]
	v_mov_b32_e32 v11, s25
	v_add_co_u32_e32 v24, vcc, s24, v10
	v_mov_b32_e32 v1, v8
	v_addc_co_u32_e32 v25, vcc, 0, v11, vcc
	v_lshlrev_b64 v[0:1], 3, v[0:1]
	v_add_co_u32_e32 v26, vcc, s24, v0
	s_mov_b32 s16, 0
	v_cmp_neq_f64_e64 s[0:1], 0, v[4:5]
	v_lshl_or_b32 v21, v18, 2, v19
	s_cselect_b32 s23, 1, 2
	v_addc_co_u32_e32 v27, vcc, v11, v1, vcc
	v_mov_b32_e32 v1, 0
	s_waitcnt vmcnt(0)
	v_subrev_u32_e32 v28, s17, v6
	v_subrev_u32_e32 v29, s17, v7
	v_cmp_lt_i32_e64 s[2:3], v6, v7
	s_branch .LBB34_9
.LBB34_8:                               ;   in Loop: Header=BB34_9 Depth=1
	s_or_b64 exec, exec, s[4:5]
	s_add_i32 s16, s16, 16
	s_cmp_lt_i32 s16, s22
	s_cbranch_scc0 .LBB34_29
.LBB34_9:                               ; =>This Loop Header: Depth=1
                                        ;     Child Loop BB34_12 Depth 2
                                        ;       Child Loop BB34_16 Depth 3
	v_or_b32_e32 v6, s16, v18
	v_pk_mov_b32 v[8:9], 0, 0
	v_ashrrev_i32_e32 v7, 31, v6
	s_and_saveexec_b64 s[18:19], s[2:3]
	s_cbranch_execz .LBB34_18
; %bb.10:                               ;   in Loop: Header=BB34_9 Depth=1
	v_lshlrev_b64 v[8:9], 3, v[6:7]
	v_mov_b32_e32 v0, s15
	v_add_co_u32_e64 v30, s[4:5], s14, v8
	v_pk_mov_b32 v[10:11], 0, 0
	v_cmp_gt_i32_e32 vcc, s22, v6
	v_addc_co_u32_e64 v31, s[4:5], v0, v9, s[4:5]
	s_mov_b64 s[20:21], 0
	v_mov_b32_e32 v32, v28
	v_pk_mov_b32 v[8:9], v[10:11], v[10:11] op_sel:[0,1]
	s_branch .LBB34_12
.LBB34_11:                              ;   in Loop: Header=BB34_12 Depth=2
	s_or_b64 exec, exec, s[24:25]
	v_add_u32_e32 v32, 16, v32
	v_cmp_ge_i32_e64 s[4:5], v32, v29
	s_or_b64 s[20:21], s[4:5], s[20:21]
	s_andn2_b64 exec, exec, s[20:21]
	s_cbranch_execz .LBB34_17
.LBB34_12:                              ;   Parent Loop BB34_9 Depth=1
                                        ; =>  This Loop Header: Depth=2
                                        ;       Child Loop BB34_16 Depth 3
	v_add_u32_e32 v16, v32, v18
	v_cmp_lt_i32_e64 s[4:5], v16, v29
	v_mov_b32_e32 v0, 0
	v_pk_mov_b32 v[12:13], v[10:11], v[10:11] op_sel:[0,1]
	v_pk_mov_b32 v[14:15], v[10:11], v[10:11] op_sel:[0,1]
	s_and_saveexec_b64 s[24:25], s[4:5]
	s_cbranch_execz .LBB34_14
; %bb.13:                               ;   in Loop: Header=BB34_12 Depth=2
	v_ashrrev_i32_e32 v17, 31, v16
	v_lshlrev_b64 v[12:13], 2, v[16:17]
	v_mov_b32_e32 v0, s11
	v_add_co_u32_e64 v12, s[4:5], s10, v12
	v_addc_co_u32_e64 v13, s[4:5], v0, v13, s[4:5]
	v_lshl_or_b32 v0, v16, 2, v23
	global_load_dword v33, v[12:13], off
	v_lshlrev_b64 v[12:13], 3, v[0:1]
	v_mov_b32_e32 v14, s13
	v_add_co_u32_e64 v16, s[4:5], s12, v12
	v_or_b32_e32 v0, s23, v0
	v_addc_co_u32_e64 v17, s[4:5], v14, v13, s[4:5]
	v_lshlrev_b64 v[12:13], 3, v[0:1]
	v_add_co_u32_e64 v34, s[4:5], s12, v12
	v_addc_co_u32_e64 v35, s[4:5], v14, v13, s[4:5]
	global_load_dwordx2 v[12:13], v[16:17], off
	global_load_dwordx2 v[14:15], v[34:35], off
	s_waitcnt vmcnt(2)
	v_subrev_u32_e32 v0, s17, v33
	v_lshlrev_b32_e32 v0, 1, v0
.LBB34_14:                              ;   in Loop: Header=BB34_12 Depth=2
	s_or_b64 exec, exec, s[24:25]
	ds_write_b32 v21, v0
	s_waitcnt vmcnt(0)
	ds_write2_b64 v22, v[12:13], v[14:15] offset1:1
	s_waitcnt lgkmcnt(0)
	; wave barrier
	s_waitcnt lgkmcnt(0)
	s_and_saveexec_b64 s[24:25], vcc
	s_cbranch_execz .LBB34_11
; %bb.15:                               ;   in Loop: Header=BB34_12 Depth=2
	s_mov_b32 s28, 0
	v_mov_b32_e32 v0, v20
.LBB34_16:                              ;   Parent Loop BB34_9 Depth=1
                                        ;     Parent Loop BB34_12 Depth=2
                                        ; =>    This Inner Loop Header: Depth=3
	v_add_u32_e32 v12, s28, v19
	ds_read_b64 v[12:13], v12
	s_add_i32 s28, s28, 8
	s_cmp_lg_u32 s28, 64
	s_waitcnt lgkmcnt(0)
	v_ashrrev_i32_e32 v33, 31, v12
	v_mul_lo_u32 v36, v12, s7
	v_mad_u64_u32 v[14:15], s[4:5], v12, s6, 0
	v_mul_lo_u32 v33, v33, s6
	v_add_u32_e32 v12, 1, v12
	v_ashrrev_i32_e32 v34, 31, v13
	v_add_u32_e32 v35, 1, v13
	v_add3_u32 v15, v15, v36, v33
	v_mul_lo_u32 v37, v13, s7
	v_mad_u64_u32 v[16:17], s[4:5], v13, s6, 0
	v_ashrrev_i32_e32 v38, 31, v12
	v_mul_lo_u32 v39, v12, s7
	v_mad_u64_u32 v[12:13], s[4:5], v12, s6, 0
	v_mul_lo_u32 v40, v34, s6
	v_ashrrev_i32_e32 v41, 31, v35
	v_mul_lo_u32 v42, v35, s7
	v_mad_u64_u32 v[34:35], s[4:5], v35, s6, 0
	v_lshlrev_b64 v[14:15], 3, v[14:15]
	v_add3_u32 v17, v17, v37, v40
	v_add_co_u32_e64 v14, s[4:5], v30, v14
	v_mul_lo_u32 v33, v38, s6
	v_lshlrev_b64 v[16:17], 3, v[16:17]
	v_addc_co_u32_e64 v15, s[4:5], v31, v15, s[4:5]
	v_add3_u32 v13, v13, v39, v33
	v_add_co_u32_e64 v16, s[4:5], v30, v16
	v_mul_lo_u32 v36, v41, s6
	v_lshlrev_b64 v[12:13], 3, v[12:13]
	v_addc_co_u32_e64 v17, s[4:5], v31, v17, s[4:5]
	v_add3_u32 v35, v35, v42, v36
	v_add_co_u32_e64 v12, s[4:5], v30, v12
	v_lshlrev_b64 v[34:35], 3, v[34:35]
	v_addc_co_u32_e64 v13, s[4:5], v31, v13, s[4:5]
	v_add_co_u32_e64 v34, s[4:5], v30, v34
	v_addc_co_u32_e64 v35, s[4:5], v31, v35, s[4:5]
	global_load_dwordx2 v[38:39], v[14:15], off
	global_load_dwordx2 v[40:41], v[12:13], off
	;; [unrolled: 1-line block ×4, first 2 shown]
	ds_read_b128 v[12:15], v0
	ds_read2_b64 v[34:37], v0 offset0:3 offset1:4
	v_add_u32_e32 v0, 48, v0
	s_waitcnt vmcnt(3) lgkmcnt(1)
	v_fmac_f64_e32 v[8:9], v[12:13], v[38:39]
	s_waitcnt vmcnt(2)
	v_fmac_f64_e32 v[8:9], v[14:15], v[40:41]
	s_waitcnt vmcnt(1) lgkmcnt(0)
	v_fmac_f64_e32 v[8:9], v[34:35], v[42:43]
	s_waitcnt vmcnt(0)
	v_fmac_f64_e32 v[8:9], v[36:37], v[44:45]
	s_cbranch_scc1 .LBB34_16
	s_branch .LBB34_11
.LBB34_17:                              ;   in Loop: Header=BB34_9 Depth=1
	s_or_b64 exec, exec, s[20:21]
.LBB34_18:                              ;   in Loop: Header=BB34_9 Depth=1
	s_or_b64 exec, exec, s[18:19]
	v_cmp_gt_i32_e32 vcc, s22, v6
	s_and_saveexec_b64 s[4:5], vcc
	s_cbranch_execz .LBB34_8
; %bb.19:                               ;   in Loop: Header=BB34_9 Depth=1
	s_and_saveexec_b64 s[18:19], s[0:1]
	s_xor_b64 s[18:19], exec, s[18:19]
	s_cbranch_execz .LBB34_24
; %bb.20:                               ;   in Loop: Header=BB34_9 Depth=1
	s_mov_b64 s[20:21], -1
	s_and_b64 vcc, exec, s[8:9]
	s_cbranch_vccz .LBB34_22
; %bb.21:                               ;   in Loop: Header=BB34_9 Depth=1
	v_lshlrev_b64 v[10:11], 3, v[6:7]
	v_add_co_u32_e32 v10, vcc, v26, v10
	v_addc_co_u32_e32 v11, vcc, v27, v11, vcc
	global_load_dwordx2 v[12:13], v[10:11], off
	v_mul_f64 v[14:15], v[2:3], v[8:9]
	s_mov_b64 s[20:21], 0
	s_waitcnt vmcnt(0)
	v_fmac_f64_e32 v[14:15], v[4:5], v[12:13]
	global_store_dwordx2 v[10:11], v[14:15], off
.LBB34_22:                              ;   in Loop: Header=BB34_9 Depth=1
	s_andn2_b64 vcc, exec, s[20:21]
	s_cbranch_vccnz .LBB34_24
; %bb.23:                               ;   in Loop: Header=BB34_9 Depth=1
	v_mul_lo_u32 v0, v7, s26
	v_mul_lo_u32 v10, v6, s27
	v_mad_u64_u32 v[6:7], s[20:21], v6, s26, 0
	v_add3_u32 v7, v7, v10, v0
	v_lshlrev_b64 v[6:7], 3, v[6:7]
	v_add_co_u32_e32 v6, vcc, v24, v6
	v_addc_co_u32_e32 v7, vcc, v25, v7, vcc
	global_load_dwordx2 v[10:11], v[6:7], off
	v_mul_f64 v[8:9], v[2:3], v[8:9]
	s_waitcnt vmcnt(0)
	v_fmac_f64_e32 v[8:9], v[4:5], v[10:11]
	global_store_dwordx2 v[6:7], v[8:9], off
                                        ; implicit-def: $vgpr8_vgpr9
                                        ; implicit-def: $vgpr6
.LBB34_24:                              ;   in Loop: Header=BB34_9 Depth=1
	s_andn2_saveexec_b64 s[18:19], s[18:19]
	s_cbranch_execz .LBB34_8
; %bb.25:                               ;   in Loop: Header=BB34_9 Depth=1
	v_mul_f64 v[8:9], v[2:3], v[8:9]
	s_mov_b64 s[18:19], -1
	s_and_b64 vcc, exec, s[8:9]
	s_cbranch_vccz .LBB34_27
; %bb.26:                               ;   in Loop: Header=BB34_9 Depth=1
	v_lshlrev_b64 v[10:11], 3, v[6:7]
	v_add_co_u32_e32 v10, vcc, v26, v10
	v_addc_co_u32_e32 v11, vcc, v27, v11, vcc
	global_store_dwordx2 v[10:11], v[8:9], off
	s_mov_b64 s[18:19], 0
.LBB34_27:                              ;   in Loop: Header=BB34_9 Depth=1
	s_andn2_b64 vcc, exec, s[18:19]
	s_cbranch_vccnz .LBB34_8
; %bb.28:                               ;   in Loop: Header=BB34_9 Depth=1
	v_mul_lo_u32 v0, v7, s26
	v_mul_lo_u32 v10, v6, s27
	v_mad_u64_u32 v[6:7], s[18:19], v6, s26, 0
	v_add3_u32 v7, v7, v10, v0
	v_lshlrev_b64 v[6:7], 3, v[6:7]
	v_add_co_u32_e32 v6, vcc, v24, v6
	v_addc_co_u32_e32 v7, vcc, v25, v7, vcc
	global_store_dwordx2 v[6:7], v[8:9], off
	s_branch .LBB34_8
.LBB34_29:
	s_endpgm
	.section	.rodata,"a",@progbits
	.p2align	6, 0x0
	.amdhsa_kernel _ZN9rocsparseL29bsrmmnt_small_blockdim_kernelILj64ELj16ELj2EiiddddEEv20rocsparse_direction_T3_S2_llNS_24const_host_device_scalarIT7_EEPKT2_PKS2_PKT4_PKT5_llS5_PT6_ll16rocsparse_order_21rocsparse_index_base_b
		.amdhsa_group_segment_fixed_size 1792
		.amdhsa_private_segment_fixed_size 0
		.amdhsa_kernarg_size 392
		.amdhsa_user_sgpr_count 6
		.amdhsa_user_sgpr_private_segment_buffer 1
		.amdhsa_user_sgpr_dispatch_ptr 0
		.amdhsa_user_sgpr_queue_ptr 0
		.amdhsa_user_sgpr_kernarg_segment_ptr 1
		.amdhsa_user_sgpr_dispatch_id 0
		.amdhsa_user_sgpr_flat_scratch_init 0
		.amdhsa_user_sgpr_kernarg_preload_length 0
		.amdhsa_user_sgpr_kernarg_preload_offset 0
		.amdhsa_user_sgpr_private_segment_size 0
		.amdhsa_uses_dynamic_stack 0
		.amdhsa_system_sgpr_private_segment_wavefront_offset 0
		.amdhsa_system_sgpr_workgroup_id_x 1
		.amdhsa_system_sgpr_workgroup_id_y 0
		.amdhsa_system_sgpr_workgroup_id_z 0
		.amdhsa_system_sgpr_workgroup_info 0
		.amdhsa_system_vgpr_workitem_id 0
		.amdhsa_next_free_vgpr 46
		.amdhsa_next_free_sgpr 29
		.amdhsa_accum_offset 48
		.amdhsa_reserve_vcc 1
		.amdhsa_reserve_flat_scratch 0
		.amdhsa_float_round_mode_32 0
		.amdhsa_float_round_mode_16_64 0
		.amdhsa_float_denorm_mode_32 3
		.amdhsa_float_denorm_mode_16_64 3
		.amdhsa_dx10_clamp 1
		.amdhsa_ieee_mode 1
		.amdhsa_fp16_overflow 0
		.amdhsa_tg_split 0
		.amdhsa_exception_fp_ieee_invalid_op 0
		.amdhsa_exception_fp_denorm_src 0
		.amdhsa_exception_fp_ieee_div_zero 0
		.amdhsa_exception_fp_ieee_overflow 0
		.amdhsa_exception_fp_ieee_underflow 0
		.amdhsa_exception_fp_ieee_inexact 0
		.amdhsa_exception_int_div_zero 0
	.end_amdhsa_kernel
	.section	.text._ZN9rocsparseL29bsrmmnt_small_blockdim_kernelILj64ELj16ELj2EiiddddEEv20rocsparse_direction_T3_S2_llNS_24const_host_device_scalarIT7_EEPKT2_PKS2_PKT4_PKT5_llS5_PT6_ll16rocsparse_order_21rocsparse_index_base_b,"axG",@progbits,_ZN9rocsparseL29bsrmmnt_small_blockdim_kernelILj64ELj16ELj2EiiddddEEv20rocsparse_direction_T3_S2_llNS_24const_host_device_scalarIT7_EEPKT2_PKS2_PKT4_PKT5_llS5_PT6_ll16rocsparse_order_21rocsparse_index_base_b,comdat
.Lfunc_end34:
	.size	_ZN9rocsparseL29bsrmmnt_small_blockdim_kernelILj64ELj16ELj2EiiddddEEv20rocsparse_direction_T3_S2_llNS_24const_host_device_scalarIT7_EEPKT2_PKS2_PKT4_PKT5_llS5_PT6_ll16rocsparse_order_21rocsparse_index_base_b, .Lfunc_end34-_ZN9rocsparseL29bsrmmnt_small_blockdim_kernelILj64ELj16ELj2EiiddddEEv20rocsparse_direction_T3_S2_llNS_24const_host_device_scalarIT7_EEPKT2_PKS2_PKT4_PKT5_llS5_PT6_ll16rocsparse_order_21rocsparse_index_base_b
                                        ; -- End function
	.section	.AMDGPU.csdata,"",@progbits
; Kernel info:
; codeLenInByte = 1464
; NumSgprs: 33
; NumVgprs: 46
; NumAgprs: 0
; TotalNumVgprs: 46
; ScratchSize: 0
; MemoryBound: 0
; FloatMode: 240
; IeeeMode: 1
; LDSByteSize: 1792 bytes/workgroup (compile time only)
; SGPRBlocks: 4
; VGPRBlocks: 5
; NumSGPRsForWavesPerEU: 33
; NumVGPRsForWavesPerEU: 46
; AccumOffset: 48
; Occupancy: 8
; WaveLimiterHint : 1
; COMPUTE_PGM_RSRC2:SCRATCH_EN: 0
; COMPUTE_PGM_RSRC2:USER_SGPR: 6
; COMPUTE_PGM_RSRC2:TRAP_HANDLER: 0
; COMPUTE_PGM_RSRC2:TGID_X_EN: 1
; COMPUTE_PGM_RSRC2:TGID_Y_EN: 0
; COMPUTE_PGM_RSRC2:TGID_Z_EN: 0
; COMPUTE_PGM_RSRC2:TIDIG_COMP_CNT: 0
; COMPUTE_PGM_RSRC3_GFX90A:ACCUM_OFFSET: 11
; COMPUTE_PGM_RSRC3_GFX90A:TG_SPLIT: 0
	.section	.text._ZN9rocsparseL29bsrmmnt_small_blockdim_kernelILj64ELj32ELj2EiiddddEEv20rocsparse_direction_T3_S2_llNS_24const_host_device_scalarIT7_EEPKT2_PKS2_PKT4_PKT5_llS5_PT6_ll16rocsparse_order_21rocsparse_index_base_b,"axG",@progbits,_ZN9rocsparseL29bsrmmnt_small_blockdim_kernelILj64ELj32ELj2EiiddddEEv20rocsparse_direction_T3_S2_llNS_24const_host_device_scalarIT7_EEPKT2_PKS2_PKT4_PKT5_llS5_PT6_ll16rocsparse_order_21rocsparse_index_base_b,comdat
	.globl	_ZN9rocsparseL29bsrmmnt_small_blockdim_kernelILj64ELj32ELj2EiiddddEEv20rocsparse_direction_T3_S2_llNS_24const_host_device_scalarIT7_EEPKT2_PKS2_PKT4_PKT5_llS5_PT6_ll16rocsparse_order_21rocsparse_index_base_b ; -- Begin function _ZN9rocsparseL29bsrmmnt_small_blockdim_kernelILj64ELj32ELj2EiiddddEEv20rocsparse_direction_T3_S2_llNS_24const_host_device_scalarIT7_EEPKT2_PKS2_PKT4_PKT5_llS5_PT6_ll16rocsparse_order_21rocsparse_index_base_b
	.p2align	8
	.type	_ZN9rocsparseL29bsrmmnt_small_blockdim_kernelILj64ELj32ELj2EiiddddEEv20rocsparse_direction_T3_S2_llNS_24const_host_device_scalarIT7_EEPKT2_PKS2_PKT4_PKT5_llS5_PT6_ll16rocsparse_order_21rocsparse_index_base_b,@function
_ZN9rocsparseL29bsrmmnt_small_blockdim_kernelILj64ELj32ELj2EiiddddEEv20rocsparse_direction_T3_S2_llNS_24const_host_device_scalarIT7_EEPKT2_PKS2_PKT4_PKT5_llS5_PT6_ll16rocsparse_order_21rocsparse_index_base_b: ; @_ZN9rocsparseL29bsrmmnt_small_blockdim_kernelILj64ELj32ELj2EiiddddEEv20rocsparse_direction_T3_S2_llNS_24const_host_device_scalarIT7_EEPKT2_PKS2_PKT4_PKT5_llS5_PT6_ll16rocsparse_order_21rocsparse_index_base_b
; %bb.0:
	s_load_dwordx4 s[16:19], s[4:5], 0x78
	s_load_dwordx2 s[8:9], s[4:5], 0x20
	s_load_dwordx2 s[0:1], s[4:5], 0x58
	s_waitcnt lgkmcnt(0)
	s_bitcmp1_b32 s18, 0
	s_cselect_b64 s[10:11], -1, 0
	s_xor_b64 s[2:3], s[10:11], -1
	s_and_b64 vcc, exec, s[10:11]
	v_pk_mov_b32 v[2:3], s[8:9], s[8:9] op_sel:[0,1]
	s_cbranch_vccnz .LBB35_2
; %bb.1:
	v_pk_mov_b32 v[2:3], s[8:9], s[8:9] op_sel:[0,1]
	flat_load_dwordx2 v[2:3], v[2:3]
.LBB35_2:
	s_andn2_b64 vcc, exec, s[2:3]
	v_pk_mov_b32 v[4:5], s[0:1], s[0:1] op_sel:[0,1]
	s_cbranch_vccnz .LBB35_4
; %bb.3:
	v_pk_mov_b32 v[4:5], s[0:1], s[0:1] op_sel:[0,1]
	flat_load_dwordx2 v[4:5], v[4:5]
.LBB35_4:
	s_waitcnt vmcnt(0) lgkmcnt(0)
	v_cmp_neq_f64_e32 vcc, 0, v[2:3]
	v_cmp_neq_f64_e64 s[0:1], 1.0, v[4:5]
	s_or_b64 s[0:1], vcc, s[0:1]
	s_and_saveexec_b64 s[2:3], s[0:1]
	s_cbranch_execz .LBB35_29
; %bb.5:
	s_load_dword s0, s[4:5], 0x94
	s_load_dwordx4 s[20:23], s[4:5], 0x0
	s_waitcnt lgkmcnt(0)
	s_and_b32 s0, s0, 0xffff
	s_mul_i32 s6, s6, s0
	v_add_u32_e32 v1, s6, v0
	v_lshrrev_b32_e32 v6, 6, v1
	v_cmp_gt_i32_e32 vcc, s21, v6
	s_and_b64 exec, exec, vcc
	s_cbranch_execz .LBB35_29
; %bb.6:
	s_cmp_lt_i32 s22, 1
	s_cbranch_scc1 .LBB35_29
; %bb.7:
	s_load_dwordx8 s[8:15], s[4:5], 0x28
	v_lshlrev_b32_e32 v6, 2, v6
	s_cmp_lg_u32 s16, 1
	v_and_b32_e32 v18, 31, v0
	v_lshrrev_b32_e32 v0, 5, v0
	s_waitcnt lgkmcnt(0)
	global_load_dwordx2 v[6:7], v6, s[8:9]
	s_load_dwordx4 s[24:27], s[4:5], 0x60
	s_load_dwordx2 s[6:7], s[4:5], 0x48
	v_mov_b32_e32 v8, 0x600
	s_cselect_b64 s[8:9], -1, 0
	s_cmp_eq_u32 s20, 0
	v_lshl_or_b32 v19, v0, 7, v8
	v_mul_u32_u24_e32 v8, 3, v18
	s_cselect_b64 s[2:3], -1, 0
	v_lshrrev_b32_e32 v9, 5, v1
	v_bfe_u32 v1, v1, 5, 1
	s_movk_i32 s4, 0x300
	v_lshlrev_b32_e32 v8, 3, v8
	v_cndmask_b32_e64 v11, 0, 1, s[2:3]
	v_mul_u32_u24_e32 v20, 0x300, v0
	v_mad_u32_u24 v22, v0, s4, v8
	s_and_b64 s[2:3], s[2:3], exec
	v_lshlrev_b32_e32 v23, v11, v1
	s_waitcnt lgkmcnt(0)
	v_mad_u64_u32 v[0:1], s[2:3], v9, s26, 0
	v_mov_b32_e32 v8, v1
	v_lshlrev_b32_e32 v10, 3, v9
	v_mad_u64_u32 v[8:9], s[2:3], v9, s27, v[8:9]
	v_mov_b32_e32 v11, s25
	v_add_co_u32_e32 v24, vcc, s24, v10
	v_mov_b32_e32 v1, v8
	v_addc_co_u32_e32 v25, vcc, 0, v11, vcc
	v_lshlrev_b64 v[0:1], 3, v[0:1]
	v_add_co_u32_e32 v26, vcc, s24, v0
	s_mov_b32 s16, 0
	v_cmp_neq_f64_e64 s[0:1], 0, v[4:5]
	v_lshl_or_b32 v21, v18, 2, v19
	s_cselect_b32 s23, 1, 2
	v_addc_co_u32_e32 v27, vcc, v11, v1, vcc
	v_mov_b32_e32 v1, 0
	s_waitcnt vmcnt(0)
	v_subrev_u32_e32 v28, s17, v6
	v_subrev_u32_e32 v29, s17, v7
	v_cmp_lt_i32_e64 s[2:3], v6, v7
	s_branch .LBB35_9
.LBB35_8:                               ;   in Loop: Header=BB35_9 Depth=1
	s_or_b64 exec, exec, s[4:5]
	s_add_i32 s16, s16, 32
	s_cmp_lt_i32 s16, s22
	s_cbranch_scc0 .LBB35_29
.LBB35_9:                               ; =>This Loop Header: Depth=1
                                        ;     Child Loop BB35_12 Depth 2
                                        ;       Child Loop BB35_16 Depth 3
	v_or_b32_e32 v6, s16, v18
	v_pk_mov_b32 v[8:9], 0, 0
	v_ashrrev_i32_e32 v7, 31, v6
	s_and_saveexec_b64 s[18:19], s[2:3]
	s_cbranch_execz .LBB35_18
; %bb.10:                               ;   in Loop: Header=BB35_9 Depth=1
	v_lshlrev_b64 v[8:9], 3, v[6:7]
	v_mov_b32_e32 v0, s15
	v_add_co_u32_e64 v30, s[4:5], s14, v8
	v_pk_mov_b32 v[10:11], 0, 0
	v_cmp_gt_i32_e32 vcc, s22, v6
	v_addc_co_u32_e64 v31, s[4:5], v0, v9, s[4:5]
	s_mov_b64 s[20:21], 0
	v_mov_b32_e32 v32, v28
	v_pk_mov_b32 v[8:9], v[10:11], v[10:11] op_sel:[0,1]
	s_branch .LBB35_12
.LBB35_11:                              ;   in Loop: Header=BB35_12 Depth=2
	s_or_b64 exec, exec, s[24:25]
	v_add_u32_e32 v32, 32, v32
	v_cmp_ge_i32_e64 s[4:5], v32, v29
	s_or_b64 s[20:21], s[4:5], s[20:21]
	s_andn2_b64 exec, exec, s[20:21]
	s_cbranch_execz .LBB35_17
.LBB35_12:                              ;   Parent Loop BB35_9 Depth=1
                                        ; =>  This Loop Header: Depth=2
                                        ;       Child Loop BB35_16 Depth 3
	v_add_u32_e32 v16, v32, v18
	v_cmp_lt_i32_e64 s[4:5], v16, v29
	v_mov_b32_e32 v0, 0
	v_pk_mov_b32 v[12:13], v[10:11], v[10:11] op_sel:[0,1]
	v_pk_mov_b32 v[14:15], v[10:11], v[10:11] op_sel:[0,1]
	s_and_saveexec_b64 s[24:25], s[4:5]
	s_cbranch_execz .LBB35_14
; %bb.13:                               ;   in Loop: Header=BB35_12 Depth=2
	v_ashrrev_i32_e32 v17, 31, v16
	v_lshlrev_b64 v[12:13], 2, v[16:17]
	v_mov_b32_e32 v0, s11
	v_add_co_u32_e64 v12, s[4:5], s10, v12
	v_addc_co_u32_e64 v13, s[4:5], v0, v13, s[4:5]
	v_lshl_or_b32 v0, v16, 2, v23
	global_load_dword v33, v[12:13], off
	v_lshlrev_b64 v[12:13], 3, v[0:1]
	v_mov_b32_e32 v14, s13
	v_add_co_u32_e64 v16, s[4:5], s12, v12
	v_or_b32_e32 v0, s23, v0
	v_addc_co_u32_e64 v17, s[4:5], v14, v13, s[4:5]
	v_lshlrev_b64 v[12:13], 3, v[0:1]
	v_add_co_u32_e64 v34, s[4:5], s12, v12
	v_addc_co_u32_e64 v35, s[4:5], v14, v13, s[4:5]
	global_load_dwordx2 v[12:13], v[16:17], off
	global_load_dwordx2 v[14:15], v[34:35], off
	s_waitcnt vmcnt(2)
	v_subrev_u32_e32 v0, s17, v33
	v_lshlrev_b32_e32 v0, 1, v0
.LBB35_14:                              ;   in Loop: Header=BB35_12 Depth=2
	s_or_b64 exec, exec, s[24:25]
	ds_write_b32 v21, v0
	s_waitcnt vmcnt(0)
	ds_write2_b64 v22, v[12:13], v[14:15] offset1:1
	s_waitcnt lgkmcnt(0)
	; wave barrier
	s_waitcnt lgkmcnt(0)
	s_and_saveexec_b64 s[24:25], vcc
	s_cbranch_execz .LBB35_11
; %bb.15:                               ;   in Loop: Header=BB35_12 Depth=2
	s_mov_b32 s28, 0
	v_mov_b32_e32 v0, v20
.LBB35_16:                              ;   Parent Loop BB35_9 Depth=1
                                        ;     Parent Loop BB35_12 Depth=2
                                        ; =>    This Inner Loop Header: Depth=3
	v_add_u32_e32 v12, s28, v19
	ds_read_b64 v[12:13], v12
	s_add_i32 s28, s28, 8
	s_cmpk_lg_i32 s28, 0x80
	s_waitcnt lgkmcnt(0)
	v_ashrrev_i32_e32 v33, 31, v12
	v_mul_lo_u32 v36, v12, s7
	v_mad_u64_u32 v[14:15], s[4:5], v12, s6, 0
	v_mul_lo_u32 v33, v33, s6
	v_add_u32_e32 v12, 1, v12
	v_ashrrev_i32_e32 v34, 31, v13
	v_add_u32_e32 v35, 1, v13
	v_add3_u32 v15, v15, v36, v33
	v_mul_lo_u32 v37, v13, s7
	v_mad_u64_u32 v[16:17], s[4:5], v13, s6, 0
	v_ashrrev_i32_e32 v38, 31, v12
	v_mul_lo_u32 v39, v12, s7
	v_mad_u64_u32 v[12:13], s[4:5], v12, s6, 0
	v_mul_lo_u32 v40, v34, s6
	v_ashrrev_i32_e32 v41, 31, v35
	v_mul_lo_u32 v42, v35, s7
	v_mad_u64_u32 v[34:35], s[4:5], v35, s6, 0
	v_lshlrev_b64 v[14:15], 3, v[14:15]
	v_add3_u32 v17, v17, v37, v40
	v_add_co_u32_e64 v14, s[4:5], v30, v14
	v_mul_lo_u32 v33, v38, s6
	v_lshlrev_b64 v[16:17], 3, v[16:17]
	v_addc_co_u32_e64 v15, s[4:5], v31, v15, s[4:5]
	v_add3_u32 v13, v13, v39, v33
	v_add_co_u32_e64 v16, s[4:5], v30, v16
	v_mul_lo_u32 v36, v41, s6
	v_lshlrev_b64 v[12:13], 3, v[12:13]
	v_addc_co_u32_e64 v17, s[4:5], v31, v17, s[4:5]
	v_add3_u32 v35, v35, v42, v36
	v_add_co_u32_e64 v12, s[4:5], v30, v12
	v_lshlrev_b64 v[34:35], 3, v[34:35]
	v_addc_co_u32_e64 v13, s[4:5], v31, v13, s[4:5]
	v_add_co_u32_e64 v34, s[4:5], v30, v34
	v_addc_co_u32_e64 v35, s[4:5], v31, v35, s[4:5]
	global_load_dwordx2 v[38:39], v[14:15], off
	global_load_dwordx2 v[40:41], v[12:13], off
	;; [unrolled: 1-line block ×4, first 2 shown]
	ds_read_b128 v[12:15], v0
	ds_read2_b64 v[34:37], v0 offset0:3 offset1:4
	v_add_u32_e32 v0, 48, v0
	s_waitcnt vmcnt(3) lgkmcnt(1)
	v_fmac_f64_e32 v[8:9], v[12:13], v[38:39]
	s_waitcnt vmcnt(2)
	v_fmac_f64_e32 v[8:9], v[14:15], v[40:41]
	s_waitcnt vmcnt(1) lgkmcnt(0)
	v_fmac_f64_e32 v[8:9], v[34:35], v[42:43]
	s_waitcnt vmcnt(0)
	v_fmac_f64_e32 v[8:9], v[36:37], v[44:45]
	s_cbranch_scc1 .LBB35_16
	s_branch .LBB35_11
.LBB35_17:                              ;   in Loop: Header=BB35_9 Depth=1
	s_or_b64 exec, exec, s[20:21]
.LBB35_18:                              ;   in Loop: Header=BB35_9 Depth=1
	s_or_b64 exec, exec, s[18:19]
	v_cmp_gt_i32_e32 vcc, s22, v6
	s_and_saveexec_b64 s[4:5], vcc
	s_cbranch_execz .LBB35_8
; %bb.19:                               ;   in Loop: Header=BB35_9 Depth=1
	s_and_saveexec_b64 s[18:19], s[0:1]
	s_xor_b64 s[18:19], exec, s[18:19]
	s_cbranch_execz .LBB35_24
; %bb.20:                               ;   in Loop: Header=BB35_9 Depth=1
	s_mov_b64 s[20:21], -1
	s_and_b64 vcc, exec, s[8:9]
	s_cbranch_vccz .LBB35_22
; %bb.21:                               ;   in Loop: Header=BB35_9 Depth=1
	v_lshlrev_b64 v[10:11], 3, v[6:7]
	v_add_co_u32_e32 v10, vcc, v26, v10
	v_addc_co_u32_e32 v11, vcc, v27, v11, vcc
	global_load_dwordx2 v[12:13], v[10:11], off
	v_mul_f64 v[14:15], v[2:3], v[8:9]
	s_mov_b64 s[20:21], 0
	s_waitcnt vmcnt(0)
	v_fmac_f64_e32 v[14:15], v[4:5], v[12:13]
	global_store_dwordx2 v[10:11], v[14:15], off
.LBB35_22:                              ;   in Loop: Header=BB35_9 Depth=1
	s_andn2_b64 vcc, exec, s[20:21]
	s_cbranch_vccnz .LBB35_24
; %bb.23:                               ;   in Loop: Header=BB35_9 Depth=1
	v_mul_lo_u32 v0, v7, s26
	v_mul_lo_u32 v10, v6, s27
	v_mad_u64_u32 v[6:7], s[20:21], v6, s26, 0
	v_add3_u32 v7, v7, v10, v0
	v_lshlrev_b64 v[6:7], 3, v[6:7]
	v_add_co_u32_e32 v6, vcc, v24, v6
	v_addc_co_u32_e32 v7, vcc, v25, v7, vcc
	global_load_dwordx2 v[10:11], v[6:7], off
	v_mul_f64 v[8:9], v[2:3], v[8:9]
	s_waitcnt vmcnt(0)
	v_fmac_f64_e32 v[8:9], v[4:5], v[10:11]
	global_store_dwordx2 v[6:7], v[8:9], off
                                        ; implicit-def: $vgpr8_vgpr9
                                        ; implicit-def: $vgpr6
.LBB35_24:                              ;   in Loop: Header=BB35_9 Depth=1
	s_andn2_saveexec_b64 s[18:19], s[18:19]
	s_cbranch_execz .LBB35_8
; %bb.25:                               ;   in Loop: Header=BB35_9 Depth=1
	v_mul_f64 v[8:9], v[2:3], v[8:9]
	s_mov_b64 s[18:19], -1
	s_and_b64 vcc, exec, s[8:9]
	s_cbranch_vccz .LBB35_27
; %bb.26:                               ;   in Loop: Header=BB35_9 Depth=1
	v_lshlrev_b64 v[10:11], 3, v[6:7]
	v_add_co_u32_e32 v10, vcc, v26, v10
	v_addc_co_u32_e32 v11, vcc, v27, v11, vcc
	global_store_dwordx2 v[10:11], v[8:9], off
	s_mov_b64 s[18:19], 0
.LBB35_27:                              ;   in Loop: Header=BB35_9 Depth=1
	s_andn2_b64 vcc, exec, s[18:19]
	s_cbranch_vccnz .LBB35_8
; %bb.28:                               ;   in Loop: Header=BB35_9 Depth=1
	v_mul_lo_u32 v0, v7, s26
	v_mul_lo_u32 v10, v6, s27
	v_mad_u64_u32 v[6:7], s[18:19], v6, s26, 0
	v_add3_u32 v7, v7, v10, v0
	v_lshlrev_b64 v[6:7], 3, v[6:7]
	v_add_co_u32_e32 v6, vcc, v24, v6
	v_addc_co_u32_e32 v7, vcc, v25, v7, vcc
	global_store_dwordx2 v[6:7], v[8:9], off
	s_branch .LBB35_8
.LBB35_29:
	s_endpgm
	.section	.rodata,"a",@progbits
	.p2align	6, 0x0
	.amdhsa_kernel _ZN9rocsparseL29bsrmmnt_small_blockdim_kernelILj64ELj32ELj2EiiddddEEv20rocsparse_direction_T3_S2_llNS_24const_host_device_scalarIT7_EEPKT2_PKS2_PKT4_PKT5_llS5_PT6_ll16rocsparse_order_21rocsparse_index_base_b
		.amdhsa_group_segment_fixed_size 1792
		.amdhsa_private_segment_fixed_size 0
		.amdhsa_kernarg_size 392
		.amdhsa_user_sgpr_count 6
		.amdhsa_user_sgpr_private_segment_buffer 1
		.amdhsa_user_sgpr_dispatch_ptr 0
		.amdhsa_user_sgpr_queue_ptr 0
		.amdhsa_user_sgpr_kernarg_segment_ptr 1
		.amdhsa_user_sgpr_dispatch_id 0
		.amdhsa_user_sgpr_flat_scratch_init 0
		.amdhsa_user_sgpr_kernarg_preload_length 0
		.amdhsa_user_sgpr_kernarg_preload_offset 0
		.amdhsa_user_sgpr_private_segment_size 0
		.amdhsa_uses_dynamic_stack 0
		.amdhsa_system_sgpr_private_segment_wavefront_offset 0
		.amdhsa_system_sgpr_workgroup_id_x 1
		.amdhsa_system_sgpr_workgroup_id_y 0
		.amdhsa_system_sgpr_workgroup_id_z 0
		.amdhsa_system_sgpr_workgroup_info 0
		.amdhsa_system_vgpr_workitem_id 0
		.amdhsa_next_free_vgpr 46
		.amdhsa_next_free_sgpr 29
		.amdhsa_accum_offset 48
		.amdhsa_reserve_vcc 1
		.amdhsa_reserve_flat_scratch 0
		.amdhsa_float_round_mode_32 0
		.amdhsa_float_round_mode_16_64 0
		.amdhsa_float_denorm_mode_32 3
		.amdhsa_float_denorm_mode_16_64 3
		.amdhsa_dx10_clamp 1
		.amdhsa_ieee_mode 1
		.amdhsa_fp16_overflow 0
		.amdhsa_tg_split 0
		.amdhsa_exception_fp_ieee_invalid_op 0
		.amdhsa_exception_fp_denorm_src 0
		.amdhsa_exception_fp_ieee_div_zero 0
		.amdhsa_exception_fp_ieee_overflow 0
		.amdhsa_exception_fp_ieee_underflow 0
		.amdhsa_exception_fp_ieee_inexact 0
		.amdhsa_exception_int_div_zero 0
	.end_amdhsa_kernel
	.section	.text._ZN9rocsparseL29bsrmmnt_small_blockdim_kernelILj64ELj32ELj2EiiddddEEv20rocsparse_direction_T3_S2_llNS_24const_host_device_scalarIT7_EEPKT2_PKS2_PKT4_PKT5_llS5_PT6_ll16rocsparse_order_21rocsparse_index_base_b,"axG",@progbits,_ZN9rocsparseL29bsrmmnt_small_blockdim_kernelILj64ELj32ELj2EiiddddEEv20rocsparse_direction_T3_S2_llNS_24const_host_device_scalarIT7_EEPKT2_PKS2_PKT4_PKT5_llS5_PT6_ll16rocsparse_order_21rocsparse_index_base_b,comdat
.Lfunc_end35:
	.size	_ZN9rocsparseL29bsrmmnt_small_blockdim_kernelILj64ELj32ELj2EiiddddEEv20rocsparse_direction_T3_S2_llNS_24const_host_device_scalarIT7_EEPKT2_PKS2_PKT4_PKT5_llS5_PT6_ll16rocsparse_order_21rocsparse_index_base_b, .Lfunc_end35-_ZN9rocsparseL29bsrmmnt_small_blockdim_kernelILj64ELj32ELj2EiiddddEEv20rocsparse_direction_T3_S2_llNS_24const_host_device_scalarIT7_EEPKT2_PKS2_PKT4_PKT5_llS5_PT6_ll16rocsparse_order_21rocsparse_index_base_b
                                        ; -- End function
	.section	.AMDGPU.csdata,"",@progbits
; Kernel info:
; codeLenInByte = 1464
; NumSgprs: 33
; NumVgprs: 46
; NumAgprs: 0
; TotalNumVgprs: 46
; ScratchSize: 0
; MemoryBound: 0
; FloatMode: 240
; IeeeMode: 1
; LDSByteSize: 1792 bytes/workgroup (compile time only)
; SGPRBlocks: 4
; VGPRBlocks: 5
; NumSGPRsForWavesPerEU: 33
; NumVGPRsForWavesPerEU: 46
; AccumOffset: 48
; Occupancy: 8
; WaveLimiterHint : 1
; COMPUTE_PGM_RSRC2:SCRATCH_EN: 0
; COMPUTE_PGM_RSRC2:USER_SGPR: 6
; COMPUTE_PGM_RSRC2:TRAP_HANDLER: 0
; COMPUTE_PGM_RSRC2:TGID_X_EN: 1
; COMPUTE_PGM_RSRC2:TGID_Y_EN: 0
; COMPUTE_PGM_RSRC2:TGID_Z_EN: 0
; COMPUTE_PGM_RSRC2:TIDIG_COMP_CNT: 0
; COMPUTE_PGM_RSRC3_GFX90A:ACCUM_OFFSET: 11
; COMPUTE_PGM_RSRC3_GFX90A:TG_SPLIT: 0
	.section	.text._ZN9rocsparseL29bsrmmnt_small_blockdim_kernelILj64ELj64ELj2EiiddddEEv20rocsparse_direction_T3_S2_llNS_24const_host_device_scalarIT7_EEPKT2_PKS2_PKT4_PKT5_llS5_PT6_ll16rocsparse_order_21rocsparse_index_base_b,"axG",@progbits,_ZN9rocsparseL29bsrmmnt_small_blockdim_kernelILj64ELj64ELj2EiiddddEEv20rocsparse_direction_T3_S2_llNS_24const_host_device_scalarIT7_EEPKT2_PKS2_PKT4_PKT5_llS5_PT6_ll16rocsparse_order_21rocsparse_index_base_b,comdat
	.globl	_ZN9rocsparseL29bsrmmnt_small_blockdim_kernelILj64ELj64ELj2EiiddddEEv20rocsparse_direction_T3_S2_llNS_24const_host_device_scalarIT7_EEPKT2_PKS2_PKT4_PKT5_llS5_PT6_ll16rocsparse_order_21rocsparse_index_base_b ; -- Begin function _ZN9rocsparseL29bsrmmnt_small_blockdim_kernelILj64ELj64ELj2EiiddddEEv20rocsparse_direction_T3_S2_llNS_24const_host_device_scalarIT7_EEPKT2_PKS2_PKT4_PKT5_llS5_PT6_ll16rocsparse_order_21rocsparse_index_base_b
	.p2align	8
	.type	_ZN9rocsparseL29bsrmmnt_small_blockdim_kernelILj64ELj64ELj2EiiddddEEv20rocsparse_direction_T3_S2_llNS_24const_host_device_scalarIT7_EEPKT2_PKS2_PKT4_PKT5_llS5_PT6_ll16rocsparse_order_21rocsparse_index_base_b,@function
_ZN9rocsparseL29bsrmmnt_small_blockdim_kernelILj64ELj64ELj2EiiddddEEv20rocsparse_direction_T3_S2_llNS_24const_host_device_scalarIT7_EEPKT2_PKS2_PKT4_PKT5_llS5_PT6_ll16rocsparse_order_21rocsparse_index_base_b: ; @_ZN9rocsparseL29bsrmmnt_small_blockdim_kernelILj64ELj64ELj2EiiddddEEv20rocsparse_direction_T3_S2_llNS_24const_host_device_scalarIT7_EEPKT2_PKS2_PKT4_PKT5_llS5_PT6_ll16rocsparse_order_21rocsparse_index_base_b
; %bb.0:
	s_load_dwordx4 s[16:19], s[4:5], 0x78
	s_load_dwordx2 s[8:9], s[4:5], 0x20
	s_load_dwordx2 s[0:1], s[4:5], 0x58
	s_waitcnt lgkmcnt(0)
	s_bitcmp1_b32 s18, 0
	s_cselect_b64 s[10:11], -1, 0
	s_xor_b64 s[2:3], s[10:11], -1
	s_and_b64 vcc, exec, s[10:11]
	v_pk_mov_b32 v[2:3], s[8:9], s[8:9] op_sel:[0,1]
	s_cbranch_vccnz .LBB36_2
; %bb.1:
	v_pk_mov_b32 v[2:3], s[8:9], s[8:9] op_sel:[0,1]
	flat_load_dwordx2 v[2:3], v[2:3]
.LBB36_2:
	s_andn2_b64 vcc, exec, s[2:3]
	v_pk_mov_b32 v[4:5], s[0:1], s[0:1] op_sel:[0,1]
	s_cbranch_vccnz .LBB36_4
; %bb.3:
	v_pk_mov_b32 v[4:5], s[0:1], s[0:1] op_sel:[0,1]
	flat_load_dwordx2 v[4:5], v[4:5]
.LBB36_4:
	s_waitcnt vmcnt(0) lgkmcnt(0)
	v_cmp_neq_f64_e32 vcc, 0, v[2:3]
	v_cmp_neq_f64_e64 s[0:1], 1.0, v[4:5]
	s_or_b64 s[0:1], vcc, s[0:1]
	s_and_saveexec_b64 s[2:3], s[0:1]
	s_cbranch_execz .LBB36_29
; %bb.5:
	s_load_dword s0, s[4:5], 0x94
	s_load_dwordx4 s[20:23], s[4:5], 0x0
	s_waitcnt lgkmcnt(0)
	s_and_b32 s0, s0, 0xffff
	s_mul_i32 s6, s6, s0
	v_add_u32_e32 v1, s6, v0
	v_lshrrev_b32_e32 v6, 7, v1
	v_cmp_gt_i32_e32 vcc, s21, v6
	s_and_b64 exec, exec, vcc
	s_cbranch_execz .LBB36_29
; %bb.6:
	s_cmp_lt_i32 s22, 1
	s_cbranch_scc1 .LBB36_29
; %bb.7:
	s_load_dwordx8 s[8:15], s[4:5], 0x28
	v_lshlrev_b32_e32 v6, 2, v6
	s_cmp_lg_u32 s16, 1
	v_mul_u32_u24_e32 v9, 3, v0
	v_lshrrev_b32_e32 v11, 6, v1
	s_waitcnt lgkmcnt(0)
	global_load_dwordx2 v[6:7], v6, s[8:9]
	s_load_dwordx4 s[24:27], s[4:5], 0x60
	s_load_dwordx2 s[6:7], s[4:5], 0x48
	s_cselect_b64 s[8:9], -1, 0
	s_cmp_eq_u32 s20, 0
	s_cselect_b64 s[2:3], -1, 0
	v_bfe_u32 v8, v1, 6, 1
	v_lshlrev_b32_e32 v21, 3, v9
	v_cndmask_b32_e64 v9, 0, 1, s[2:3]
	s_and_b64 s[2:3], s[2:3], exec
	v_lshlrev_b32_e32 v22, v9, v8
	s_waitcnt lgkmcnt(0)
	v_mad_u64_u32 v[8:9], s[2:3], v11, s26, 0
	v_mov_b32_e32 v10, v9
	v_lshlrev_b32_e32 v12, 3, v11
	v_mad_u64_u32 v[10:11], s[2:3], v11, s27, v[10:11]
	v_mov_b32_e32 v13, s25
	v_add_co_u32_e32 v23, vcc, s24, v12
	v_mov_b32_e32 v9, v10
	v_addc_co_u32_e32 v24, vcc, 0, v13, vcc
	v_lshlrev_b64 v[8:9], 3, v[8:9]
	v_mov_b32_e32 v1, 0x600
	v_add_co_u32_e32 v25, vcc, s24, v8
	s_mov_b32 s16, 0
	v_cmp_neq_f64_e64 s[0:1], 0, v[4:5]
	v_lshl_or_b32 v20, v0, 2, v1
	s_cselect_b32 s23, 1, 2
	v_addc_co_u32_e32 v26, vcc, v13, v9, vcc
	s_waitcnt vmcnt(0)
	v_subrev_u32_e32 v27, s17, v6
	v_subrev_u32_e32 v28, s17, v7
	v_cmp_lt_i32_e64 s[2:3], v6, v7
	v_mov_b32_e32 v7, 0
	s_branch .LBB36_9
.LBB36_8:                               ;   in Loop: Header=BB36_9 Depth=1
	s_or_b64 exec, exec, s[4:5]
	s_add_i32 s16, s16, 64
	s_cmp_lt_i32 s16, s22
	s_cbranch_scc0 .LBB36_29
.LBB36_9:                               ; =>This Loop Header: Depth=1
                                        ;     Child Loop BB36_12 Depth 2
                                        ;       Child Loop BB36_16 Depth 3
	v_or_b32_e32 v8, s16, v0
	v_pk_mov_b32 v[10:11], 0, 0
	v_ashrrev_i32_e32 v9, 31, v8
	s_and_saveexec_b64 s[18:19], s[2:3]
	s_cbranch_execz .LBB36_18
; %bb.10:                               ;   in Loop: Header=BB36_9 Depth=1
	v_lshlrev_b64 v[10:11], 3, v[8:9]
	v_mov_b32_e32 v6, s15
	v_add_co_u32_e64 v29, s[4:5], s14, v10
	v_pk_mov_b32 v[12:13], 0, 0
	v_cmp_gt_i32_e32 vcc, s22, v8
	v_addc_co_u32_e64 v30, s[4:5], v6, v11, s[4:5]
	s_mov_b64 s[20:21], 0
	v_mov_b32_e32 v31, v27
	v_pk_mov_b32 v[10:11], v[12:13], v[12:13] op_sel:[0,1]
	s_branch .LBB36_12
.LBB36_11:                              ;   in Loop: Header=BB36_12 Depth=2
	s_or_b64 exec, exec, s[24:25]
	v_add_u32_e32 v31, 64, v31
	v_cmp_ge_i32_e64 s[4:5], v31, v28
	s_or_b64 s[20:21], s[4:5], s[20:21]
	s_andn2_b64 exec, exec, s[20:21]
	s_cbranch_execz .LBB36_17
.LBB36_12:                              ;   Parent Loop BB36_9 Depth=1
                                        ; =>  This Loop Header: Depth=2
                                        ;       Child Loop BB36_16 Depth 3
	v_add_u32_e32 v18, v31, v0
	v_cmp_lt_i32_e64 s[4:5], v18, v28
	v_mov_b32_e32 v6, 0
	v_pk_mov_b32 v[14:15], v[12:13], v[12:13] op_sel:[0,1]
	v_pk_mov_b32 v[16:17], v[12:13], v[12:13] op_sel:[0,1]
	s_and_saveexec_b64 s[24:25], s[4:5]
	s_cbranch_execz .LBB36_14
; %bb.13:                               ;   in Loop: Header=BB36_12 Depth=2
	v_ashrrev_i32_e32 v19, 31, v18
	v_lshlrev_b64 v[14:15], 2, v[18:19]
	v_mov_b32_e32 v6, s11
	v_add_co_u32_e64 v14, s[4:5], s10, v14
	v_addc_co_u32_e64 v15, s[4:5], v6, v15, s[4:5]
	v_lshl_or_b32 v6, v18, 2, v22
	global_load_dword v34, v[14:15], off
	v_lshlrev_b64 v[14:15], 3, v[6:7]
	v_mov_b32_e32 v16, s13
	v_add_co_u32_e64 v18, s[4:5], s12, v14
	v_or_b32_e32 v6, s23, v6
	v_addc_co_u32_e64 v19, s[4:5], v16, v15, s[4:5]
	v_lshlrev_b64 v[14:15], 3, v[6:7]
	v_add_co_u32_e64 v32, s[4:5], s12, v14
	v_addc_co_u32_e64 v33, s[4:5], v16, v15, s[4:5]
	global_load_dwordx2 v[14:15], v[18:19], off
	global_load_dwordx2 v[16:17], v[32:33], off
	s_waitcnt vmcnt(2)
	v_subrev_u32_e32 v6, s17, v34
	v_lshlrev_b32_e32 v6, 1, v6
.LBB36_14:                              ;   in Loop: Header=BB36_12 Depth=2
	s_or_b64 exec, exec, s[24:25]
	ds_write_b32 v20, v6
	s_waitcnt vmcnt(0)
	ds_write2_b64 v21, v[14:15], v[16:17] offset1:1
	s_waitcnt lgkmcnt(0)
	; wave barrier
	s_waitcnt lgkmcnt(0)
	s_and_saveexec_b64 s[24:25], vcc
	s_cbranch_execz .LBB36_11
; %bb.15:                               ;   in Loop: Header=BB36_12 Depth=2
	s_mov_b32 s28, 0
	v_mov_b32_e32 v6, 0
.LBB36_16:                              ;   Parent Loop BB36_9 Depth=1
                                        ;     Parent Loop BB36_12 Depth=2
                                        ; =>    This Inner Loop Header: Depth=3
	v_add_u32_e32 v14, s28, v1
	ds_read_b64 v[14:15], v14
	s_add_i32 s28, s28, 8
	s_cmpk_lg_i32 s28, 0x100
	s_waitcnt lgkmcnt(0)
	v_ashrrev_i32_e32 v32, 31, v14
	v_mul_lo_u32 v34, v14, s7
	v_mad_u64_u32 v[16:17], s[4:5], v14, s6, 0
	v_mul_lo_u32 v37, v32, s6
	v_add_u32_e32 v14, 1, v14
	v_ashrrev_i32_e32 v33, 31, v15
	v_add_u32_e32 v36, 1, v15
	v_add3_u32 v17, v17, v34, v37
	v_mul_lo_u32 v35, v15, s7
	v_mad_u64_u32 v[18:19], s[4:5], v15, s6, 0
	v_ashrrev_i32_e32 v38, 31, v14
	v_mul_lo_u32 v39, v14, s7
	v_mad_u64_u32 v[14:15], s[4:5], v14, s6, 0
	v_mul_lo_u32 v40, v33, s6
	v_mad_u64_u32 v[32:33], s[4:5], v36, s6, 0
	v_lshlrev_b64 v[16:17], 3, v[16:17]
	v_add3_u32 v19, v19, v35, v40
	v_add_co_u32_e64 v16, s[4:5], v29, v16
	v_mul_lo_u32 v34, v38, s6
	v_lshlrev_b64 v[18:19], 3, v[18:19]
	v_addc_co_u32_e64 v17, s[4:5], v30, v17, s[4:5]
	v_ashrrev_i32_e32 v41, 31, v36
	v_add3_u32 v15, v15, v39, v34
	v_add_co_u32_e64 v18, s[4:5], v29, v18
	v_mul_lo_u32 v42, v36, s7
	v_mul_lo_u32 v35, v41, s6
	v_lshlrev_b64 v[14:15], 3, v[14:15]
	v_addc_co_u32_e64 v19, s[4:5], v30, v19, s[4:5]
	v_add3_u32 v33, v33, v42, v35
	v_add_co_u32_e64 v14, s[4:5], v29, v14
	v_lshlrev_b64 v[32:33], 3, v[32:33]
	v_addc_co_u32_e64 v15, s[4:5], v30, v15, s[4:5]
	v_add_co_u32_e64 v32, s[4:5], v29, v32
	v_addc_co_u32_e64 v33, s[4:5], v30, v33, s[4:5]
	global_load_dwordx2 v[36:37], v[16:17], off
	global_load_dwordx2 v[38:39], v[14:15], off
	;; [unrolled: 1-line block ×4, first 2 shown]
	ds_read_b128 v[14:17], v6
	ds_read2_b64 v[32:35], v6 offset0:3 offset1:4
	v_add_u32_e32 v6, 48, v6
	s_waitcnt vmcnt(3) lgkmcnt(1)
	v_fmac_f64_e32 v[10:11], v[14:15], v[36:37]
	s_waitcnt vmcnt(2)
	v_fmac_f64_e32 v[10:11], v[16:17], v[38:39]
	s_waitcnt vmcnt(1) lgkmcnt(0)
	v_fmac_f64_e32 v[10:11], v[32:33], v[40:41]
	s_waitcnt vmcnt(0)
	v_fmac_f64_e32 v[10:11], v[34:35], v[42:43]
	s_cbranch_scc1 .LBB36_16
	s_branch .LBB36_11
.LBB36_17:                              ;   in Loop: Header=BB36_9 Depth=1
	s_or_b64 exec, exec, s[20:21]
.LBB36_18:                              ;   in Loop: Header=BB36_9 Depth=1
	s_or_b64 exec, exec, s[18:19]
	v_cmp_gt_i32_e32 vcc, s22, v8
	s_and_saveexec_b64 s[4:5], vcc
	s_cbranch_execz .LBB36_8
; %bb.19:                               ;   in Loop: Header=BB36_9 Depth=1
	s_and_saveexec_b64 s[18:19], s[0:1]
	s_xor_b64 s[18:19], exec, s[18:19]
	s_cbranch_execz .LBB36_24
; %bb.20:                               ;   in Loop: Header=BB36_9 Depth=1
	s_mov_b64 s[20:21], -1
	s_and_b64 vcc, exec, s[8:9]
	s_cbranch_vccz .LBB36_22
; %bb.21:                               ;   in Loop: Header=BB36_9 Depth=1
	v_lshlrev_b64 v[12:13], 3, v[8:9]
	v_add_co_u32_e32 v12, vcc, v25, v12
	v_addc_co_u32_e32 v13, vcc, v26, v13, vcc
	global_load_dwordx2 v[14:15], v[12:13], off
	v_mul_f64 v[16:17], v[2:3], v[10:11]
	s_mov_b64 s[20:21], 0
	s_waitcnt vmcnt(0)
	v_fmac_f64_e32 v[16:17], v[4:5], v[14:15]
	global_store_dwordx2 v[12:13], v[16:17], off
.LBB36_22:                              ;   in Loop: Header=BB36_9 Depth=1
	s_andn2_b64 vcc, exec, s[20:21]
	s_cbranch_vccnz .LBB36_24
; %bb.23:                               ;   in Loop: Header=BB36_9 Depth=1
	v_mul_lo_u32 v6, v9, s26
	v_mul_lo_u32 v12, v8, s27
	v_mad_u64_u32 v[8:9], s[20:21], v8, s26, 0
	v_add3_u32 v9, v9, v12, v6
	v_lshlrev_b64 v[8:9], 3, v[8:9]
	v_add_co_u32_e32 v8, vcc, v23, v8
	v_addc_co_u32_e32 v9, vcc, v24, v9, vcc
	global_load_dwordx2 v[12:13], v[8:9], off
	v_mul_f64 v[10:11], v[2:3], v[10:11]
	s_waitcnt vmcnt(0)
	v_fmac_f64_e32 v[10:11], v[4:5], v[12:13]
	global_store_dwordx2 v[8:9], v[10:11], off
                                        ; implicit-def: $vgpr10_vgpr11
                                        ; implicit-def: $vgpr8
.LBB36_24:                              ;   in Loop: Header=BB36_9 Depth=1
	s_andn2_saveexec_b64 s[18:19], s[18:19]
	s_cbranch_execz .LBB36_8
; %bb.25:                               ;   in Loop: Header=BB36_9 Depth=1
	v_mul_f64 v[10:11], v[2:3], v[10:11]
	s_mov_b64 s[18:19], -1
	s_and_b64 vcc, exec, s[8:9]
	s_cbranch_vccz .LBB36_27
; %bb.26:                               ;   in Loop: Header=BB36_9 Depth=1
	v_lshlrev_b64 v[12:13], 3, v[8:9]
	v_add_co_u32_e32 v12, vcc, v25, v12
	v_addc_co_u32_e32 v13, vcc, v26, v13, vcc
	global_store_dwordx2 v[12:13], v[10:11], off
	s_mov_b64 s[18:19], 0
.LBB36_27:                              ;   in Loop: Header=BB36_9 Depth=1
	s_andn2_b64 vcc, exec, s[18:19]
	s_cbranch_vccnz .LBB36_8
; %bb.28:                               ;   in Loop: Header=BB36_9 Depth=1
	v_mul_lo_u32 v6, v9, s26
	v_mul_lo_u32 v12, v8, s27
	v_mad_u64_u32 v[8:9], s[18:19], v8, s26, 0
	v_add3_u32 v9, v9, v12, v6
	v_lshlrev_b64 v[8:9], 3, v[8:9]
	v_add_co_u32_e32 v8, vcc, v23, v8
	v_addc_co_u32_e32 v9, vcc, v24, v9, vcc
	global_store_dwordx2 v[8:9], v[10:11], off
	s_branch .LBB36_8
.LBB36_29:
	s_endpgm
	.section	.rodata,"a",@progbits
	.p2align	6, 0x0
	.amdhsa_kernel _ZN9rocsparseL29bsrmmnt_small_blockdim_kernelILj64ELj64ELj2EiiddddEEv20rocsparse_direction_T3_S2_llNS_24const_host_device_scalarIT7_EEPKT2_PKS2_PKT4_PKT5_llS5_PT6_ll16rocsparse_order_21rocsparse_index_base_b
		.amdhsa_group_segment_fixed_size 1792
		.amdhsa_private_segment_fixed_size 0
		.amdhsa_kernarg_size 392
		.amdhsa_user_sgpr_count 6
		.amdhsa_user_sgpr_private_segment_buffer 1
		.amdhsa_user_sgpr_dispatch_ptr 0
		.amdhsa_user_sgpr_queue_ptr 0
		.amdhsa_user_sgpr_kernarg_segment_ptr 1
		.amdhsa_user_sgpr_dispatch_id 0
		.amdhsa_user_sgpr_flat_scratch_init 0
		.amdhsa_user_sgpr_kernarg_preload_length 0
		.amdhsa_user_sgpr_kernarg_preload_offset 0
		.amdhsa_user_sgpr_private_segment_size 0
		.amdhsa_uses_dynamic_stack 0
		.amdhsa_system_sgpr_private_segment_wavefront_offset 0
		.amdhsa_system_sgpr_workgroup_id_x 1
		.amdhsa_system_sgpr_workgroup_id_y 0
		.amdhsa_system_sgpr_workgroup_id_z 0
		.amdhsa_system_sgpr_workgroup_info 0
		.amdhsa_system_vgpr_workitem_id 0
		.amdhsa_next_free_vgpr 44
		.amdhsa_next_free_sgpr 29
		.amdhsa_accum_offset 44
		.amdhsa_reserve_vcc 1
		.amdhsa_reserve_flat_scratch 0
		.amdhsa_float_round_mode_32 0
		.amdhsa_float_round_mode_16_64 0
		.amdhsa_float_denorm_mode_32 3
		.amdhsa_float_denorm_mode_16_64 3
		.amdhsa_dx10_clamp 1
		.amdhsa_ieee_mode 1
		.amdhsa_fp16_overflow 0
		.amdhsa_tg_split 0
		.amdhsa_exception_fp_ieee_invalid_op 0
		.amdhsa_exception_fp_denorm_src 0
		.amdhsa_exception_fp_ieee_div_zero 0
		.amdhsa_exception_fp_ieee_overflow 0
		.amdhsa_exception_fp_ieee_underflow 0
		.amdhsa_exception_fp_ieee_inexact 0
		.amdhsa_exception_int_div_zero 0
	.end_amdhsa_kernel
	.section	.text._ZN9rocsparseL29bsrmmnt_small_blockdim_kernelILj64ELj64ELj2EiiddddEEv20rocsparse_direction_T3_S2_llNS_24const_host_device_scalarIT7_EEPKT2_PKS2_PKT4_PKT5_llS5_PT6_ll16rocsparse_order_21rocsparse_index_base_b,"axG",@progbits,_ZN9rocsparseL29bsrmmnt_small_blockdim_kernelILj64ELj64ELj2EiiddddEEv20rocsparse_direction_T3_S2_llNS_24const_host_device_scalarIT7_EEPKT2_PKS2_PKT4_PKT5_llS5_PT6_ll16rocsparse_order_21rocsparse_index_base_b,comdat
.Lfunc_end36:
	.size	_ZN9rocsparseL29bsrmmnt_small_blockdim_kernelILj64ELj64ELj2EiiddddEEv20rocsparse_direction_T3_S2_llNS_24const_host_device_scalarIT7_EEPKT2_PKS2_PKT4_PKT5_llS5_PT6_ll16rocsparse_order_21rocsparse_index_base_b, .Lfunc_end36-_ZN9rocsparseL29bsrmmnt_small_blockdim_kernelILj64ELj64ELj2EiiddddEEv20rocsparse_direction_T3_S2_llNS_24const_host_device_scalarIT7_EEPKT2_PKS2_PKT4_PKT5_llS5_PT6_ll16rocsparse_order_21rocsparse_index_base_b
                                        ; -- End function
	.section	.AMDGPU.csdata,"",@progbits
; Kernel info:
; codeLenInByte = 1428
; NumSgprs: 33
; NumVgprs: 44
; NumAgprs: 0
; TotalNumVgprs: 44
; ScratchSize: 0
; MemoryBound: 0
; FloatMode: 240
; IeeeMode: 1
; LDSByteSize: 1792 bytes/workgroup (compile time only)
; SGPRBlocks: 4
; VGPRBlocks: 5
; NumSGPRsForWavesPerEU: 33
; NumVGPRsForWavesPerEU: 44
; AccumOffset: 44
; Occupancy: 8
; WaveLimiterHint : 1
; COMPUTE_PGM_RSRC2:SCRATCH_EN: 0
; COMPUTE_PGM_RSRC2:USER_SGPR: 6
; COMPUTE_PGM_RSRC2:TRAP_HANDLER: 0
; COMPUTE_PGM_RSRC2:TGID_X_EN: 1
; COMPUTE_PGM_RSRC2:TGID_Y_EN: 0
; COMPUTE_PGM_RSRC2:TGID_Z_EN: 0
; COMPUTE_PGM_RSRC2:TIDIG_COMP_CNT: 0
; COMPUTE_PGM_RSRC3_GFX90A:ACCUM_OFFSET: 10
; COMPUTE_PGM_RSRC3_GFX90A:TG_SPLIT: 0
	.section	.text._ZN9rocsparseL29bsrmmnt_small_blockdim_kernelILj64ELj8ELj2EliddddEEv20rocsparse_direction_T3_S2_llNS_24const_host_device_scalarIT7_EEPKT2_PKS2_PKT4_PKT5_llS5_PT6_ll16rocsparse_order_21rocsparse_index_base_b,"axG",@progbits,_ZN9rocsparseL29bsrmmnt_small_blockdim_kernelILj64ELj8ELj2EliddddEEv20rocsparse_direction_T3_S2_llNS_24const_host_device_scalarIT7_EEPKT2_PKS2_PKT4_PKT5_llS5_PT6_ll16rocsparse_order_21rocsparse_index_base_b,comdat
	.globl	_ZN9rocsparseL29bsrmmnt_small_blockdim_kernelILj64ELj8ELj2EliddddEEv20rocsparse_direction_T3_S2_llNS_24const_host_device_scalarIT7_EEPKT2_PKS2_PKT4_PKT5_llS5_PT6_ll16rocsparse_order_21rocsparse_index_base_b ; -- Begin function _ZN9rocsparseL29bsrmmnt_small_blockdim_kernelILj64ELj8ELj2EliddddEEv20rocsparse_direction_T3_S2_llNS_24const_host_device_scalarIT7_EEPKT2_PKS2_PKT4_PKT5_llS5_PT6_ll16rocsparse_order_21rocsparse_index_base_b
	.p2align	8
	.type	_ZN9rocsparseL29bsrmmnt_small_blockdim_kernelILj64ELj8ELj2EliddddEEv20rocsparse_direction_T3_S2_llNS_24const_host_device_scalarIT7_EEPKT2_PKS2_PKT4_PKT5_llS5_PT6_ll16rocsparse_order_21rocsparse_index_base_b,@function
_ZN9rocsparseL29bsrmmnt_small_blockdim_kernelILj64ELj8ELj2EliddddEEv20rocsparse_direction_T3_S2_llNS_24const_host_device_scalarIT7_EEPKT2_PKS2_PKT4_PKT5_llS5_PT6_ll16rocsparse_order_21rocsparse_index_base_b: ; @_ZN9rocsparseL29bsrmmnt_small_blockdim_kernelILj64ELj8ELj2EliddddEEv20rocsparse_direction_T3_S2_llNS_24const_host_device_scalarIT7_EEPKT2_PKS2_PKT4_PKT5_llS5_PT6_ll16rocsparse_order_21rocsparse_index_base_b
; %bb.0:
	s_load_dwordx4 s[16:19], s[4:5], 0x78
	s_load_dwordx2 s[8:9], s[4:5], 0x20
	s_load_dwordx2 s[0:1], s[4:5], 0x58
	s_waitcnt lgkmcnt(0)
	s_bitcmp1_b32 s18, 0
	s_cselect_b64 s[10:11], -1, 0
	s_xor_b64 s[2:3], s[10:11], -1
	s_and_b64 vcc, exec, s[10:11]
	v_pk_mov_b32 v[2:3], s[8:9], s[8:9] op_sel:[0,1]
	s_cbranch_vccnz .LBB37_2
; %bb.1:
	v_pk_mov_b32 v[2:3], s[8:9], s[8:9] op_sel:[0,1]
	flat_load_dwordx2 v[2:3], v[2:3]
.LBB37_2:
	s_andn2_b64 vcc, exec, s[2:3]
	v_pk_mov_b32 v[4:5], s[0:1], s[0:1] op_sel:[0,1]
	s_cbranch_vccnz .LBB37_4
; %bb.3:
	v_pk_mov_b32 v[4:5], s[0:1], s[0:1] op_sel:[0,1]
	flat_load_dwordx2 v[4:5], v[4:5]
.LBB37_4:
	s_waitcnt vmcnt(0) lgkmcnt(0)
	v_cmp_neq_f64_e32 vcc, 0, v[2:3]
	v_cmp_neq_f64_e64 s[0:1], 1.0, v[4:5]
	s_or_b64 s[0:1], vcc, s[0:1]
	s_and_saveexec_b64 s[2:3], s[0:1]
	s_cbranch_execz .LBB37_29
; %bb.5:
	s_load_dword s0, s[4:5], 0x94
	s_load_dwordx4 s[20:23], s[4:5], 0x0
	s_waitcnt lgkmcnt(0)
	s_and_b32 s0, s0, 0xffff
	s_mul_i32 s6, s6, s0
	v_add_u32_e32 v1, s6, v0
	v_lshrrev_b32_e32 v6, 4, v1
	v_cmp_gt_i32_e32 vcc, s21, v6
	s_and_b64 exec, exec, vcc
	s_cbranch_execz .LBB37_29
; %bb.6:
	s_cmp_lt_i32 s22, 1
	s_cbranch_scc1 .LBB37_29
; %bb.7:
	s_load_dwordx8 s[8:15], s[4:5], 0x28
	v_lshlrev_b32_e32 v6, 3, v6
	s_cmp_lg_u32 s16, 1
	v_lshrrev_b32_e32 v9, 3, v1
	v_bfe_u32 v10, v1, 3, 1
	s_waitcnt lgkmcnt(0)
	global_load_dwordx4 v[12:15], v6, s[8:9]
	s_load_dwordx4 s[24:27], s[4:5], 0x60
	s_load_dwordx2 s[6:7], s[4:5], 0x48
	v_and_b32_e32 v6, 7, v0
	v_and_b32_e32 v16, -8, v1
	s_cselect_b64 s[8:9], -1, 0
	s_cmp_eq_u32 s20, 0
	v_mul_u32_u24_e32 v1, 3, v6
	v_lshrrev_b32_e32 v0, 3, v0
	v_mov_b32_e32 v7, 0x600
	s_movk_i32 s4, 0xc0
	v_lshlrev_b32_e32 v1, 3, v1
	s_cselect_b64 s[2:3], -1, 0
	v_lshl_or_b32 v7, v0, 5, v7
	v_mul_u32_u24_e32 v11, 0xc0, v0
	v_cndmask_b32_e64 v17, 0, 1, s[2:3]
	v_mad_u32_u24 v27, v0, s4, v1
	s_and_b64 s[2:3], s[2:3], exec
	s_waitcnt lgkmcnt(0)
	v_mad_u64_u32 v[0:1], s[2:3], v9, s26, 0
	v_mov_b32_e32 v8, v1
	v_mad_u64_u32 v[8:9], s[2:3], v9, s27, v[8:9]
	v_mov_b32_e32 v18, s25
	v_add_co_u32_e32 v28, vcc, s24, v16
	v_mov_b32_e32 v1, v8
	v_addc_co_u32_e32 v29, vcc, 0, v18, vcc
	v_lshlrev_b64 v[0:1], 3, v[0:1]
	v_add_co_u32_e32 v30, vcc, s24, v0
	v_addc_co_u32_e32 v31, vcc, v18, v1, vcc
	s_mov_b32 s23, 0
	v_cmp_neq_f64_e64 s[0:1], 0, v[4:5]
	v_lshl_or_b32 v26, v6, 2, v7
	s_cselect_b32 s16, 1, 2
	v_lshlrev_b32_e32 v10, v17, v10
	s_waitcnt vmcnt(0)
	v_subrev_co_u32_e32 v0, vcc, s17, v12
	v_subbrev_co_u32_e32 v1, vcc, 0, v13, vcc
	v_subrev_co_u32_e32 v8, vcc, s17, v14
	v_subbrev_co_u32_e32 v9, vcc, 0, v15, vcc
	v_cmp_lt_i64_e64 s[2:3], v[12:13], v[14:15]
	s_branch .LBB37_9
.LBB37_8:                               ;   in Loop: Header=BB37_9 Depth=1
	s_or_b64 exec, exec, s[4:5]
	s_add_i32 s23, s23, 8
	s_cmp_lt_i32 s23, s22
	s_cbranch_scc0 .LBB37_29
.LBB37_9:                               ; =>This Loop Header: Depth=1
                                        ;     Child Loop BB37_12 Depth 2
                                        ;       Child Loop BB37_16 Depth 3
	v_or_b32_e32 v12, s23, v6
	v_pk_mov_b32 v[14:15], 0, 0
	v_ashrrev_i32_e32 v13, 31, v12
	s_and_saveexec_b64 s[18:19], s[2:3]
	s_cbranch_execz .LBB37_18
; %bb.10:                               ;   in Loop: Header=BB37_9 Depth=1
	v_lshlrev_b64 v[14:15], 3, v[12:13]
	v_mov_b32_e32 v16, s15
	v_add_co_u32_e64 v32, s[4:5], s14, v14
	v_addc_co_u32_e64 v33, s[4:5], v16, v15, s[4:5]
	v_pk_mov_b32 v[16:17], 0, 0
	v_cmp_gt_i32_e32 vcc, s22, v12
	s_mov_b64 s[20:21], 0
	v_pk_mov_b32 v[18:19], v[0:1], v[0:1] op_sel:[0,1]
	v_pk_mov_b32 v[14:15], v[16:17], v[16:17] op_sel:[0,1]
	s_branch .LBB37_12
.LBB37_11:                              ;   in Loop: Header=BB37_12 Depth=2
	s_or_b64 exec, exec, s[24:25]
	v_add_co_u32_e64 v18, s[4:5], 8, v18
	v_addc_co_u32_e64 v19, s[4:5], 0, v19, s[4:5]
	v_cmp_ge_i64_e64 s[4:5], v[18:19], v[8:9]
	s_or_b64 s[20:21], s[4:5], s[20:21]
	s_andn2_b64 exec, exec, s[20:21]
	s_cbranch_execz .LBB37_17
.LBB37_12:                              ;   Parent Loop BB37_9 Depth=1
                                        ; =>  This Loop Header: Depth=2
                                        ;       Child Loop BB37_16 Depth 3
	v_add_co_u32_e64 v24, s[4:5], v18, v6
	v_addc_co_u32_e64 v25, s[4:5], 0, v19, s[4:5]
	v_cmp_lt_i64_e64 s[4:5], v[24:25], v[8:9]
	v_mov_b32_e32 v34, 0
	v_pk_mov_b32 v[20:21], v[16:17], v[16:17] op_sel:[0,1]
	v_pk_mov_b32 v[22:23], v[16:17], v[16:17] op_sel:[0,1]
	s_and_saveexec_b64 s[24:25], s[4:5]
	s_cbranch_execz .LBB37_14
; %bb.13:                               ;   in Loop: Header=BB37_12 Depth=2
	v_lshlrev_b64 v[20:21], 2, v[24:25]
	v_mov_b32_e32 v23, s11
	v_add_co_u32_e64 v22, s[4:5], s10, v20
	v_addc_co_u32_e64 v23, s[4:5], v23, v21, s[4:5]
	v_or_b32_e32 v21, 0, v21
	v_or_b32_e32 v20, v20, v10
	global_load_dword v36, v[22:23], off
	v_lshlrev_b64 v[22:23], 3, v[20:21]
	v_mov_b32_e32 v35, s13
	v_add_co_u32_e64 v24, s[4:5], s12, v22
	v_or_b32_e32 v21, 0, v21
	v_or_b32_e32 v20, s16, v20
	v_addc_co_u32_e64 v25, s[4:5], v35, v23, s[4:5]
	v_lshlrev_b64 v[20:21], 3, v[20:21]
	v_add_co_u32_e64 v34, s[4:5], s12, v20
	v_addc_co_u32_e64 v35, s[4:5], v35, v21, s[4:5]
	global_load_dwordx2 v[20:21], v[24:25], off
	global_load_dwordx2 v[22:23], v[34:35], off
	s_waitcnt vmcnt(2)
	v_subrev_u32_e32 v24, s17, v36
	v_lshlrev_b32_e32 v34, 1, v24
.LBB37_14:                              ;   in Loop: Header=BB37_12 Depth=2
	s_or_b64 exec, exec, s[24:25]
	ds_write_b32 v26, v34
	s_waitcnt vmcnt(0)
	ds_write2_b64 v27, v[20:21], v[22:23] offset1:1
	s_waitcnt lgkmcnt(0)
	; wave barrier
	s_waitcnt lgkmcnt(0)
	s_and_saveexec_b64 s[24:25], vcc
	s_cbranch_execz .LBB37_11
; %bb.15:                               ;   in Loop: Header=BB37_12 Depth=2
	s_mov_b32 s28, 0
	v_mov_b32_e32 v20, v11
.LBB37_16:                              ;   Parent Loop BB37_9 Depth=1
                                        ;     Parent Loop BB37_12 Depth=2
                                        ; =>    This Inner Loop Header: Depth=3
	v_add_u32_e32 v21, s28, v7
	ds_read_b64 v[22:23], v21
	s_add_i32 s28, s28, 8
	s_cmp_lg_u32 s28, 32
	s_waitcnt lgkmcnt(0)
	v_ashrrev_i32_e32 v21, 31, v22
	v_mul_lo_u32 v38, v22, s7
	v_mad_u64_u32 v[24:25], s[4:5], v22, s6, 0
	v_mul_lo_u32 v21, v21, s6
	v_add_u32_e32 v22, 1, v22
	v_ashrrev_i32_e32 v36, 31, v23
	v_add_u32_e32 v37, 1, v23
	v_add3_u32 v25, v25, v38, v21
	v_mul_lo_u32 v39, v23, s7
	v_mad_u64_u32 v[34:35], s[4:5], v23, s6, 0
	v_ashrrev_i32_e32 v40, 31, v22
	v_mul_lo_u32 v41, v22, s7
	v_mad_u64_u32 v[22:23], s[4:5], v22, s6, 0
	v_mul_lo_u32 v42, v36, s6
	v_ashrrev_i32_e32 v43, 31, v37
	v_mul_lo_u32 v44, v37, s7
	v_mad_u64_u32 v[36:37], s[4:5], v37, s6, 0
	v_lshlrev_b64 v[24:25], 3, v[24:25]
	v_add3_u32 v35, v35, v39, v42
	v_add_co_u32_e64 v24, s[4:5], v32, v24
	v_mul_lo_u32 v21, v40, s6
	v_lshlrev_b64 v[34:35], 3, v[34:35]
	v_addc_co_u32_e64 v25, s[4:5], v33, v25, s[4:5]
	v_add3_u32 v23, v23, v41, v21
	v_add_co_u32_e64 v34, s[4:5], v32, v34
	v_mul_lo_u32 v38, v43, s6
	v_lshlrev_b64 v[22:23], 3, v[22:23]
	v_addc_co_u32_e64 v35, s[4:5], v33, v35, s[4:5]
	v_add3_u32 v37, v37, v44, v38
	v_add_co_u32_e64 v22, s[4:5], v32, v22
	v_lshlrev_b64 v[36:37], 3, v[36:37]
	v_addc_co_u32_e64 v23, s[4:5], v33, v23, s[4:5]
	v_add_co_u32_e64 v36, s[4:5], v32, v36
	v_addc_co_u32_e64 v37, s[4:5], v33, v37, s[4:5]
	global_load_dwordx2 v[38:39], v[24:25], off
	global_load_dwordx2 v[40:41], v[22:23], off
	global_load_dwordx2 v[42:43], v[34:35], off
	global_load_dwordx2 v[44:45], v[36:37], off
	ds_read_b128 v[22:25], v20
	ds_read2_b64 v[34:37], v20 offset0:3 offset1:4
	v_add_u32_e32 v20, 48, v20
	s_waitcnt vmcnt(3) lgkmcnt(1)
	v_fmac_f64_e32 v[14:15], v[22:23], v[38:39]
	s_waitcnt vmcnt(2)
	v_fmac_f64_e32 v[14:15], v[24:25], v[40:41]
	s_waitcnt vmcnt(1) lgkmcnt(0)
	v_fmac_f64_e32 v[14:15], v[34:35], v[42:43]
	s_waitcnt vmcnt(0)
	v_fmac_f64_e32 v[14:15], v[36:37], v[44:45]
	s_cbranch_scc1 .LBB37_16
	s_branch .LBB37_11
.LBB37_17:                              ;   in Loop: Header=BB37_9 Depth=1
	s_or_b64 exec, exec, s[20:21]
.LBB37_18:                              ;   in Loop: Header=BB37_9 Depth=1
	s_or_b64 exec, exec, s[18:19]
	v_cmp_gt_i32_e32 vcc, s22, v12
	s_and_saveexec_b64 s[4:5], vcc
	s_cbranch_execz .LBB37_8
; %bb.19:                               ;   in Loop: Header=BB37_9 Depth=1
	s_and_saveexec_b64 s[18:19], s[0:1]
	s_xor_b64 s[18:19], exec, s[18:19]
	s_cbranch_execz .LBB37_24
; %bb.20:                               ;   in Loop: Header=BB37_9 Depth=1
	s_mov_b64 s[20:21], -1
	s_and_b64 vcc, exec, s[8:9]
	s_cbranch_vccz .LBB37_22
; %bb.21:                               ;   in Loop: Header=BB37_9 Depth=1
	v_lshlrev_b64 v[16:17], 3, v[12:13]
	v_add_co_u32_e32 v16, vcc, v30, v16
	v_addc_co_u32_e32 v17, vcc, v31, v17, vcc
	global_load_dwordx2 v[18:19], v[16:17], off
	v_mul_f64 v[20:21], v[2:3], v[14:15]
	s_mov_b64 s[20:21], 0
	s_waitcnt vmcnt(0)
	v_fmac_f64_e32 v[20:21], v[4:5], v[18:19]
	global_store_dwordx2 v[16:17], v[20:21], off
.LBB37_22:                              ;   in Loop: Header=BB37_9 Depth=1
	s_andn2_b64 vcc, exec, s[20:21]
	s_cbranch_vccnz .LBB37_24
; %bb.23:                               ;   in Loop: Header=BB37_9 Depth=1
	v_mul_lo_u32 v16, v13, s26
	v_mul_lo_u32 v17, v12, s27
	v_mad_u64_u32 v[12:13], s[20:21], v12, s26, 0
	v_add3_u32 v13, v13, v17, v16
	v_lshlrev_b64 v[12:13], 3, v[12:13]
	v_add_co_u32_e32 v12, vcc, v28, v12
	v_addc_co_u32_e32 v13, vcc, v29, v13, vcc
	global_load_dwordx2 v[16:17], v[12:13], off
	v_mul_f64 v[14:15], v[2:3], v[14:15]
	s_waitcnt vmcnt(0)
	v_fmac_f64_e32 v[14:15], v[4:5], v[16:17]
	global_store_dwordx2 v[12:13], v[14:15], off
                                        ; implicit-def: $vgpr14_vgpr15
                                        ; implicit-def: $vgpr12
.LBB37_24:                              ;   in Loop: Header=BB37_9 Depth=1
	s_andn2_saveexec_b64 s[18:19], s[18:19]
	s_cbranch_execz .LBB37_8
; %bb.25:                               ;   in Loop: Header=BB37_9 Depth=1
	v_mul_f64 v[14:15], v[2:3], v[14:15]
	s_mov_b64 s[18:19], -1
	s_and_b64 vcc, exec, s[8:9]
	s_cbranch_vccz .LBB37_27
; %bb.26:                               ;   in Loop: Header=BB37_9 Depth=1
	v_lshlrev_b64 v[16:17], 3, v[12:13]
	v_add_co_u32_e32 v16, vcc, v30, v16
	v_addc_co_u32_e32 v17, vcc, v31, v17, vcc
	global_store_dwordx2 v[16:17], v[14:15], off
	s_mov_b64 s[18:19], 0
.LBB37_27:                              ;   in Loop: Header=BB37_9 Depth=1
	s_andn2_b64 vcc, exec, s[18:19]
	s_cbranch_vccnz .LBB37_8
; %bb.28:                               ;   in Loop: Header=BB37_9 Depth=1
	v_mul_lo_u32 v16, v13, s26
	v_mul_lo_u32 v17, v12, s27
	v_mad_u64_u32 v[12:13], s[18:19], v12, s26, 0
	v_add3_u32 v13, v13, v17, v16
	v_lshlrev_b64 v[12:13], 3, v[12:13]
	v_add_co_u32_e32 v12, vcc, v28, v12
	v_addc_co_u32_e32 v13, vcc, v29, v13, vcc
	global_store_dwordx2 v[12:13], v[14:15], off
	s_branch .LBB37_8
.LBB37_29:
	s_endpgm
	.section	.rodata,"a",@progbits
	.p2align	6, 0x0
	.amdhsa_kernel _ZN9rocsparseL29bsrmmnt_small_blockdim_kernelILj64ELj8ELj2EliddddEEv20rocsparse_direction_T3_S2_llNS_24const_host_device_scalarIT7_EEPKT2_PKS2_PKT4_PKT5_llS5_PT6_ll16rocsparse_order_21rocsparse_index_base_b
		.amdhsa_group_segment_fixed_size 1792
		.amdhsa_private_segment_fixed_size 0
		.amdhsa_kernarg_size 392
		.amdhsa_user_sgpr_count 6
		.amdhsa_user_sgpr_private_segment_buffer 1
		.amdhsa_user_sgpr_dispatch_ptr 0
		.amdhsa_user_sgpr_queue_ptr 0
		.amdhsa_user_sgpr_kernarg_segment_ptr 1
		.amdhsa_user_sgpr_dispatch_id 0
		.amdhsa_user_sgpr_flat_scratch_init 0
		.amdhsa_user_sgpr_kernarg_preload_length 0
		.amdhsa_user_sgpr_kernarg_preload_offset 0
		.amdhsa_user_sgpr_private_segment_size 0
		.amdhsa_uses_dynamic_stack 0
		.amdhsa_system_sgpr_private_segment_wavefront_offset 0
		.amdhsa_system_sgpr_workgroup_id_x 1
		.amdhsa_system_sgpr_workgroup_id_y 0
		.amdhsa_system_sgpr_workgroup_id_z 0
		.amdhsa_system_sgpr_workgroup_info 0
		.amdhsa_system_vgpr_workitem_id 0
		.amdhsa_next_free_vgpr 46
		.amdhsa_next_free_sgpr 29
		.amdhsa_accum_offset 48
		.amdhsa_reserve_vcc 1
		.amdhsa_reserve_flat_scratch 0
		.amdhsa_float_round_mode_32 0
		.amdhsa_float_round_mode_16_64 0
		.amdhsa_float_denorm_mode_32 3
		.amdhsa_float_denorm_mode_16_64 3
		.amdhsa_dx10_clamp 1
		.amdhsa_ieee_mode 1
		.amdhsa_fp16_overflow 0
		.amdhsa_tg_split 0
		.amdhsa_exception_fp_ieee_invalid_op 0
		.amdhsa_exception_fp_denorm_src 0
		.amdhsa_exception_fp_ieee_div_zero 0
		.amdhsa_exception_fp_ieee_overflow 0
		.amdhsa_exception_fp_ieee_underflow 0
		.amdhsa_exception_fp_ieee_inexact 0
		.amdhsa_exception_int_div_zero 0
	.end_amdhsa_kernel
	.section	.text._ZN9rocsparseL29bsrmmnt_small_blockdim_kernelILj64ELj8ELj2EliddddEEv20rocsparse_direction_T3_S2_llNS_24const_host_device_scalarIT7_EEPKT2_PKS2_PKT4_PKT5_llS5_PT6_ll16rocsparse_order_21rocsparse_index_base_b,"axG",@progbits,_ZN9rocsparseL29bsrmmnt_small_blockdim_kernelILj64ELj8ELj2EliddddEEv20rocsparse_direction_T3_S2_llNS_24const_host_device_scalarIT7_EEPKT2_PKS2_PKT4_PKT5_llS5_PT6_ll16rocsparse_order_21rocsparse_index_base_b,comdat
.Lfunc_end37:
	.size	_ZN9rocsparseL29bsrmmnt_small_blockdim_kernelILj64ELj8ELj2EliddddEEv20rocsparse_direction_T3_S2_llNS_24const_host_device_scalarIT7_EEPKT2_PKS2_PKT4_PKT5_llS5_PT6_ll16rocsparse_order_21rocsparse_index_base_b, .Lfunc_end37-_ZN9rocsparseL29bsrmmnt_small_blockdim_kernelILj64ELj8ELj2EliddddEEv20rocsparse_direction_T3_S2_llNS_24const_host_device_scalarIT7_EEPKT2_PKS2_PKT4_PKT5_llS5_PT6_ll16rocsparse_order_21rocsparse_index_base_b
                                        ; -- End function
	.section	.AMDGPU.csdata,"",@progbits
; Kernel info:
; codeLenInByte = 1496
; NumSgprs: 33
; NumVgprs: 46
; NumAgprs: 0
; TotalNumVgprs: 46
; ScratchSize: 0
; MemoryBound: 0
; FloatMode: 240
; IeeeMode: 1
; LDSByteSize: 1792 bytes/workgroup (compile time only)
; SGPRBlocks: 4
; VGPRBlocks: 5
; NumSGPRsForWavesPerEU: 33
; NumVGPRsForWavesPerEU: 46
; AccumOffset: 48
; Occupancy: 8
; WaveLimiterHint : 1
; COMPUTE_PGM_RSRC2:SCRATCH_EN: 0
; COMPUTE_PGM_RSRC2:USER_SGPR: 6
; COMPUTE_PGM_RSRC2:TRAP_HANDLER: 0
; COMPUTE_PGM_RSRC2:TGID_X_EN: 1
; COMPUTE_PGM_RSRC2:TGID_Y_EN: 0
; COMPUTE_PGM_RSRC2:TGID_Z_EN: 0
; COMPUTE_PGM_RSRC2:TIDIG_COMP_CNT: 0
; COMPUTE_PGM_RSRC3_GFX90A:ACCUM_OFFSET: 11
; COMPUTE_PGM_RSRC3_GFX90A:TG_SPLIT: 0
	.section	.text._ZN9rocsparseL29bsrmmnt_small_blockdim_kernelILj64ELj16ELj2EliddddEEv20rocsparse_direction_T3_S2_llNS_24const_host_device_scalarIT7_EEPKT2_PKS2_PKT4_PKT5_llS5_PT6_ll16rocsparse_order_21rocsparse_index_base_b,"axG",@progbits,_ZN9rocsparseL29bsrmmnt_small_blockdim_kernelILj64ELj16ELj2EliddddEEv20rocsparse_direction_T3_S2_llNS_24const_host_device_scalarIT7_EEPKT2_PKS2_PKT4_PKT5_llS5_PT6_ll16rocsparse_order_21rocsparse_index_base_b,comdat
	.globl	_ZN9rocsparseL29bsrmmnt_small_blockdim_kernelILj64ELj16ELj2EliddddEEv20rocsparse_direction_T3_S2_llNS_24const_host_device_scalarIT7_EEPKT2_PKS2_PKT4_PKT5_llS5_PT6_ll16rocsparse_order_21rocsparse_index_base_b ; -- Begin function _ZN9rocsparseL29bsrmmnt_small_blockdim_kernelILj64ELj16ELj2EliddddEEv20rocsparse_direction_T3_S2_llNS_24const_host_device_scalarIT7_EEPKT2_PKS2_PKT4_PKT5_llS5_PT6_ll16rocsparse_order_21rocsparse_index_base_b
	.p2align	8
	.type	_ZN9rocsparseL29bsrmmnt_small_blockdim_kernelILj64ELj16ELj2EliddddEEv20rocsparse_direction_T3_S2_llNS_24const_host_device_scalarIT7_EEPKT2_PKS2_PKT4_PKT5_llS5_PT6_ll16rocsparse_order_21rocsparse_index_base_b,@function
_ZN9rocsparseL29bsrmmnt_small_blockdim_kernelILj64ELj16ELj2EliddddEEv20rocsparse_direction_T3_S2_llNS_24const_host_device_scalarIT7_EEPKT2_PKS2_PKT4_PKT5_llS5_PT6_ll16rocsparse_order_21rocsparse_index_base_b: ; @_ZN9rocsparseL29bsrmmnt_small_blockdim_kernelILj64ELj16ELj2EliddddEEv20rocsparse_direction_T3_S2_llNS_24const_host_device_scalarIT7_EEPKT2_PKS2_PKT4_PKT5_llS5_PT6_ll16rocsparse_order_21rocsparse_index_base_b
; %bb.0:
	s_load_dwordx4 s[16:19], s[4:5], 0x78
	s_load_dwordx2 s[8:9], s[4:5], 0x20
	s_load_dwordx2 s[0:1], s[4:5], 0x58
	s_waitcnt lgkmcnt(0)
	s_bitcmp1_b32 s18, 0
	s_cselect_b64 s[10:11], -1, 0
	s_xor_b64 s[2:3], s[10:11], -1
	s_and_b64 vcc, exec, s[10:11]
	v_pk_mov_b32 v[2:3], s[8:9], s[8:9] op_sel:[0,1]
	s_cbranch_vccnz .LBB38_2
; %bb.1:
	v_pk_mov_b32 v[2:3], s[8:9], s[8:9] op_sel:[0,1]
	flat_load_dwordx2 v[2:3], v[2:3]
.LBB38_2:
	s_andn2_b64 vcc, exec, s[2:3]
	v_pk_mov_b32 v[4:5], s[0:1], s[0:1] op_sel:[0,1]
	s_cbranch_vccnz .LBB38_4
; %bb.3:
	v_pk_mov_b32 v[4:5], s[0:1], s[0:1] op_sel:[0,1]
	flat_load_dwordx2 v[4:5], v[4:5]
.LBB38_4:
	s_waitcnt vmcnt(0) lgkmcnt(0)
	v_cmp_neq_f64_e32 vcc, 0, v[2:3]
	v_cmp_neq_f64_e64 s[0:1], 1.0, v[4:5]
	s_or_b64 s[0:1], vcc, s[0:1]
	s_and_saveexec_b64 s[2:3], s[0:1]
	s_cbranch_execz .LBB38_29
; %bb.5:
	s_load_dword s0, s[4:5], 0x94
	s_load_dwordx4 s[20:23], s[4:5], 0x0
	s_waitcnt lgkmcnt(0)
	s_and_b32 s0, s0, 0xffff
	s_mul_i32 s6, s6, s0
	v_add_u32_e32 v1, s6, v0
	v_lshrrev_b32_e32 v6, 5, v1
	v_cmp_gt_i32_e32 vcc, s21, v6
	s_and_b64 exec, exec, vcc
	s_cbranch_execz .LBB38_29
; %bb.6:
	s_cmp_lt_i32 s22, 1
	s_cbranch_scc1 .LBB38_29
; %bb.7:
	s_load_dwordx8 s[8:15], s[4:5], 0x28
	v_lshlrev_b32_e32 v6, 3, v6
	v_lshrrev_b32_e32 v9, 4, v1
	v_bfe_u32 v10, v1, 4, 1
	v_mov_b32_e32 v1, 0x600
	s_waitcnt lgkmcnt(0)
	global_load_dwordx4 v[12:15], v6, s[8:9]
	s_load_dwordx4 s[24:27], s[4:5], 0x60
	s_load_dwordx2 s[6:7], s[4:5], 0x48
	v_and_b32_e32 v6, 15, v0
	v_lshrrev_b32_e32 v0, 4, v0
	s_cmp_lg_u32 s16, 1
	v_lshl_or_b32 v7, v0, 6, v1
	s_cselect_b64 s[8:9], -1, 0
	s_cmp_eq_u32 s20, 0
	v_mul_u32_u24_e32 v1, 3, v6
	s_movk_i32 s4, 0x180
	v_lshlrev_b32_e32 v1, 3, v1
	s_cselect_b64 s[2:3], -1, 0
	v_mul_u32_u24_e32 v11, 0x180, v0
	v_cndmask_b32_e64 v17, 0, 1, s[2:3]
	v_mad_u32_u24 v27, v0, s4, v1
	s_and_b64 s[2:3], s[2:3], exec
	s_waitcnt lgkmcnt(0)
	v_mad_u64_u32 v[0:1], s[2:3], v9, s26, 0
	v_mov_b32_e32 v8, v1
	v_lshlrev_b32_e32 v16, 3, v9
	v_mad_u64_u32 v[8:9], s[2:3], v9, s27, v[8:9]
	v_mov_b32_e32 v18, s25
	v_add_co_u32_e32 v28, vcc, s24, v16
	v_mov_b32_e32 v1, v8
	v_addc_co_u32_e32 v29, vcc, 0, v18, vcc
	v_lshlrev_b64 v[0:1], 3, v[0:1]
	v_add_co_u32_e32 v30, vcc, s24, v0
	v_addc_co_u32_e32 v31, vcc, v18, v1, vcc
	s_mov_b32 s23, 0
	v_cmp_neq_f64_e64 s[0:1], 0, v[4:5]
	v_lshl_or_b32 v26, v6, 2, v7
	s_cselect_b32 s16, 1, 2
	v_lshlrev_b32_e32 v10, v17, v10
	s_waitcnt vmcnt(0)
	v_subrev_co_u32_e32 v0, vcc, s17, v12
	v_subbrev_co_u32_e32 v1, vcc, 0, v13, vcc
	v_subrev_co_u32_e32 v8, vcc, s17, v14
	v_subbrev_co_u32_e32 v9, vcc, 0, v15, vcc
	v_cmp_lt_i64_e64 s[2:3], v[12:13], v[14:15]
	s_branch .LBB38_9
.LBB38_8:                               ;   in Loop: Header=BB38_9 Depth=1
	s_or_b64 exec, exec, s[4:5]
	s_add_i32 s23, s23, 16
	s_cmp_lt_i32 s23, s22
	s_cbranch_scc0 .LBB38_29
.LBB38_9:                               ; =>This Loop Header: Depth=1
                                        ;     Child Loop BB38_12 Depth 2
                                        ;       Child Loop BB38_16 Depth 3
	v_or_b32_e32 v12, s23, v6
	v_pk_mov_b32 v[14:15], 0, 0
	v_ashrrev_i32_e32 v13, 31, v12
	s_and_saveexec_b64 s[18:19], s[2:3]
	s_cbranch_execz .LBB38_18
; %bb.10:                               ;   in Loop: Header=BB38_9 Depth=1
	v_lshlrev_b64 v[14:15], 3, v[12:13]
	v_mov_b32_e32 v16, s15
	v_add_co_u32_e64 v32, s[4:5], s14, v14
	v_addc_co_u32_e64 v33, s[4:5], v16, v15, s[4:5]
	v_pk_mov_b32 v[16:17], 0, 0
	v_cmp_gt_i32_e32 vcc, s22, v12
	s_mov_b64 s[20:21], 0
	v_pk_mov_b32 v[18:19], v[0:1], v[0:1] op_sel:[0,1]
	v_pk_mov_b32 v[14:15], v[16:17], v[16:17] op_sel:[0,1]
	s_branch .LBB38_12
.LBB38_11:                              ;   in Loop: Header=BB38_12 Depth=2
	s_or_b64 exec, exec, s[24:25]
	v_add_co_u32_e64 v18, s[4:5], 16, v18
	v_addc_co_u32_e64 v19, s[4:5], 0, v19, s[4:5]
	v_cmp_ge_i64_e64 s[4:5], v[18:19], v[8:9]
	s_or_b64 s[20:21], s[4:5], s[20:21]
	s_andn2_b64 exec, exec, s[20:21]
	s_cbranch_execz .LBB38_17
.LBB38_12:                              ;   Parent Loop BB38_9 Depth=1
                                        ; =>  This Loop Header: Depth=2
                                        ;       Child Loop BB38_16 Depth 3
	v_add_co_u32_e64 v24, s[4:5], v18, v6
	v_addc_co_u32_e64 v25, s[4:5], 0, v19, s[4:5]
	v_cmp_lt_i64_e64 s[4:5], v[24:25], v[8:9]
	v_mov_b32_e32 v34, 0
	v_pk_mov_b32 v[20:21], v[16:17], v[16:17] op_sel:[0,1]
	v_pk_mov_b32 v[22:23], v[16:17], v[16:17] op_sel:[0,1]
	s_and_saveexec_b64 s[24:25], s[4:5]
	s_cbranch_execz .LBB38_14
; %bb.13:                               ;   in Loop: Header=BB38_12 Depth=2
	v_lshlrev_b64 v[20:21], 2, v[24:25]
	v_mov_b32_e32 v23, s11
	v_add_co_u32_e64 v22, s[4:5], s10, v20
	v_addc_co_u32_e64 v23, s[4:5], v23, v21, s[4:5]
	v_or_b32_e32 v21, 0, v21
	v_or_b32_e32 v20, v20, v10
	global_load_dword v36, v[22:23], off
	v_lshlrev_b64 v[22:23], 3, v[20:21]
	v_mov_b32_e32 v35, s13
	v_add_co_u32_e64 v24, s[4:5], s12, v22
	v_or_b32_e32 v21, 0, v21
	v_or_b32_e32 v20, s16, v20
	v_addc_co_u32_e64 v25, s[4:5], v35, v23, s[4:5]
	v_lshlrev_b64 v[20:21], 3, v[20:21]
	v_add_co_u32_e64 v34, s[4:5], s12, v20
	v_addc_co_u32_e64 v35, s[4:5], v35, v21, s[4:5]
	global_load_dwordx2 v[20:21], v[24:25], off
	global_load_dwordx2 v[22:23], v[34:35], off
	s_waitcnt vmcnt(2)
	v_subrev_u32_e32 v24, s17, v36
	v_lshlrev_b32_e32 v34, 1, v24
.LBB38_14:                              ;   in Loop: Header=BB38_12 Depth=2
	s_or_b64 exec, exec, s[24:25]
	ds_write_b32 v26, v34
	s_waitcnt vmcnt(0)
	ds_write2_b64 v27, v[20:21], v[22:23] offset1:1
	s_waitcnt lgkmcnt(0)
	; wave barrier
	s_waitcnt lgkmcnt(0)
	s_and_saveexec_b64 s[24:25], vcc
	s_cbranch_execz .LBB38_11
; %bb.15:                               ;   in Loop: Header=BB38_12 Depth=2
	s_mov_b32 s28, 0
	v_mov_b32_e32 v20, v11
.LBB38_16:                              ;   Parent Loop BB38_9 Depth=1
                                        ;     Parent Loop BB38_12 Depth=2
                                        ; =>    This Inner Loop Header: Depth=3
	v_add_u32_e32 v21, s28, v7
	ds_read_b64 v[22:23], v21
	s_add_i32 s28, s28, 8
	s_cmp_lg_u32 s28, 64
	s_waitcnt lgkmcnt(0)
	v_ashrrev_i32_e32 v21, 31, v22
	v_mul_lo_u32 v38, v22, s7
	v_mad_u64_u32 v[24:25], s[4:5], v22, s6, 0
	v_mul_lo_u32 v21, v21, s6
	v_add_u32_e32 v22, 1, v22
	v_ashrrev_i32_e32 v36, 31, v23
	v_add_u32_e32 v37, 1, v23
	v_add3_u32 v25, v25, v38, v21
	v_mul_lo_u32 v39, v23, s7
	v_mad_u64_u32 v[34:35], s[4:5], v23, s6, 0
	v_ashrrev_i32_e32 v40, 31, v22
	v_mul_lo_u32 v41, v22, s7
	v_mad_u64_u32 v[22:23], s[4:5], v22, s6, 0
	v_mul_lo_u32 v42, v36, s6
	v_ashrrev_i32_e32 v43, 31, v37
	v_mul_lo_u32 v44, v37, s7
	v_mad_u64_u32 v[36:37], s[4:5], v37, s6, 0
	v_lshlrev_b64 v[24:25], 3, v[24:25]
	v_add3_u32 v35, v35, v39, v42
	v_add_co_u32_e64 v24, s[4:5], v32, v24
	v_mul_lo_u32 v21, v40, s6
	v_lshlrev_b64 v[34:35], 3, v[34:35]
	v_addc_co_u32_e64 v25, s[4:5], v33, v25, s[4:5]
	v_add3_u32 v23, v23, v41, v21
	v_add_co_u32_e64 v34, s[4:5], v32, v34
	v_mul_lo_u32 v38, v43, s6
	v_lshlrev_b64 v[22:23], 3, v[22:23]
	v_addc_co_u32_e64 v35, s[4:5], v33, v35, s[4:5]
	v_add3_u32 v37, v37, v44, v38
	v_add_co_u32_e64 v22, s[4:5], v32, v22
	v_lshlrev_b64 v[36:37], 3, v[36:37]
	v_addc_co_u32_e64 v23, s[4:5], v33, v23, s[4:5]
	v_add_co_u32_e64 v36, s[4:5], v32, v36
	v_addc_co_u32_e64 v37, s[4:5], v33, v37, s[4:5]
	global_load_dwordx2 v[38:39], v[24:25], off
	global_load_dwordx2 v[40:41], v[22:23], off
	;; [unrolled: 1-line block ×4, first 2 shown]
	ds_read_b128 v[22:25], v20
	ds_read2_b64 v[34:37], v20 offset0:3 offset1:4
	v_add_u32_e32 v20, 48, v20
	s_waitcnt vmcnt(3) lgkmcnt(1)
	v_fmac_f64_e32 v[14:15], v[22:23], v[38:39]
	s_waitcnt vmcnt(2)
	v_fmac_f64_e32 v[14:15], v[24:25], v[40:41]
	s_waitcnt vmcnt(1) lgkmcnt(0)
	v_fmac_f64_e32 v[14:15], v[34:35], v[42:43]
	s_waitcnt vmcnt(0)
	v_fmac_f64_e32 v[14:15], v[36:37], v[44:45]
	s_cbranch_scc1 .LBB38_16
	s_branch .LBB38_11
.LBB38_17:                              ;   in Loop: Header=BB38_9 Depth=1
	s_or_b64 exec, exec, s[20:21]
.LBB38_18:                              ;   in Loop: Header=BB38_9 Depth=1
	s_or_b64 exec, exec, s[18:19]
	v_cmp_gt_i32_e32 vcc, s22, v12
	s_and_saveexec_b64 s[4:5], vcc
	s_cbranch_execz .LBB38_8
; %bb.19:                               ;   in Loop: Header=BB38_9 Depth=1
	s_and_saveexec_b64 s[18:19], s[0:1]
	s_xor_b64 s[18:19], exec, s[18:19]
	s_cbranch_execz .LBB38_24
; %bb.20:                               ;   in Loop: Header=BB38_9 Depth=1
	s_mov_b64 s[20:21], -1
	s_and_b64 vcc, exec, s[8:9]
	s_cbranch_vccz .LBB38_22
; %bb.21:                               ;   in Loop: Header=BB38_9 Depth=1
	v_lshlrev_b64 v[16:17], 3, v[12:13]
	v_add_co_u32_e32 v16, vcc, v30, v16
	v_addc_co_u32_e32 v17, vcc, v31, v17, vcc
	global_load_dwordx2 v[18:19], v[16:17], off
	v_mul_f64 v[20:21], v[2:3], v[14:15]
	s_mov_b64 s[20:21], 0
	s_waitcnt vmcnt(0)
	v_fmac_f64_e32 v[20:21], v[4:5], v[18:19]
	global_store_dwordx2 v[16:17], v[20:21], off
.LBB38_22:                              ;   in Loop: Header=BB38_9 Depth=1
	s_andn2_b64 vcc, exec, s[20:21]
	s_cbranch_vccnz .LBB38_24
; %bb.23:                               ;   in Loop: Header=BB38_9 Depth=1
	v_mul_lo_u32 v16, v13, s26
	v_mul_lo_u32 v17, v12, s27
	v_mad_u64_u32 v[12:13], s[20:21], v12, s26, 0
	v_add3_u32 v13, v13, v17, v16
	v_lshlrev_b64 v[12:13], 3, v[12:13]
	v_add_co_u32_e32 v12, vcc, v28, v12
	v_addc_co_u32_e32 v13, vcc, v29, v13, vcc
	global_load_dwordx2 v[16:17], v[12:13], off
	v_mul_f64 v[14:15], v[2:3], v[14:15]
	s_waitcnt vmcnt(0)
	v_fmac_f64_e32 v[14:15], v[4:5], v[16:17]
	global_store_dwordx2 v[12:13], v[14:15], off
                                        ; implicit-def: $vgpr14_vgpr15
                                        ; implicit-def: $vgpr12
.LBB38_24:                              ;   in Loop: Header=BB38_9 Depth=1
	s_andn2_saveexec_b64 s[18:19], s[18:19]
	s_cbranch_execz .LBB38_8
; %bb.25:                               ;   in Loop: Header=BB38_9 Depth=1
	v_mul_f64 v[14:15], v[2:3], v[14:15]
	s_mov_b64 s[18:19], -1
	s_and_b64 vcc, exec, s[8:9]
	s_cbranch_vccz .LBB38_27
; %bb.26:                               ;   in Loop: Header=BB38_9 Depth=1
	v_lshlrev_b64 v[16:17], 3, v[12:13]
	v_add_co_u32_e32 v16, vcc, v30, v16
	v_addc_co_u32_e32 v17, vcc, v31, v17, vcc
	global_store_dwordx2 v[16:17], v[14:15], off
	s_mov_b64 s[18:19], 0
.LBB38_27:                              ;   in Loop: Header=BB38_9 Depth=1
	s_andn2_b64 vcc, exec, s[18:19]
	s_cbranch_vccnz .LBB38_8
; %bb.28:                               ;   in Loop: Header=BB38_9 Depth=1
	v_mul_lo_u32 v16, v13, s26
	v_mul_lo_u32 v17, v12, s27
	v_mad_u64_u32 v[12:13], s[18:19], v12, s26, 0
	v_add3_u32 v13, v13, v17, v16
	v_lshlrev_b64 v[12:13], 3, v[12:13]
	v_add_co_u32_e32 v12, vcc, v28, v12
	v_addc_co_u32_e32 v13, vcc, v29, v13, vcc
	global_store_dwordx2 v[12:13], v[14:15], off
	s_branch .LBB38_8
.LBB38_29:
	s_endpgm
	.section	.rodata,"a",@progbits
	.p2align	6, 0x0
	.amdhsa_kernel _ZN9rocsparseL29bsrmmnt_small_blockdim_kernelILj64ELj16ELj2EliddddEEv20rocsparse_direction_T3_S2_llNS_24const_host_device_scalarIT7_EEPKT2_PKS2_PKT4_PKT5_llS5_PT6_ll16rocsparse_order_21rocsparse_index_base_b
		.amdhsa_group_segment_fixed_size 1792
		.amdhsa_private_segment_fixed_size 0
		.amdhsa_kernarg_size 392
		.amdhsa_user_sgpr_count 6
		.amdhsa_user_sgpr_private_segment_buffer 1
		.amdhsa_user_sgpr_dispatch_ptr 0
		.amdhsa_user_sgpr_queue_ptr 0
		.amdhsa_user_sgpr_kernarg_segment_ptr 1
		.amdhsa_user_sgpr_dispatch_id 0
		.amdhsa_user_sgpr_flat_scratch_init 0
		.amdhsa_user_sgpr_kernarg_preload_length 0
		.amdhsa_user_sgpr_kernarg_preload_offset 0
		.amdhsa_user_sgpr_private_segment_size 0
		.amdhsa_uses_dynamic_stack 0
		.amdhsa_system_sgpr_private_segment_wavefront_offset 0
		.amdhsa_system_sgpr_workgroup_id_x 1
		.amdhsa_system_sgpr_workgroup_id_y 0
		.amdhsa_system_sgpr_workgroup_id_z 0
		.amdhsa_system_sgpr_workgroup_info 0
		.amdhsa_system_vgpr_workitem_id 0
		.amdhsa_next_free_vgpr 46
		.amdhsa_next_free_sgpr 29
		.amdhsa_accum_offset 48
		.amdhsa_reserve_vcc 1
		.amdhsa_reserve_flat_scratch 0
		.amdhsa_float_round_mode_32 0
		.amdhsa_float_round_mode_16_64 0
		.amdhsa_float_denorm_mode_32 3
		.amdhsa_float_denorm_mode_16_64 3
		.amdhsa_dx10_clamp 1
		.amdhsa_ieee_mode 1
		.amdhsa_fp16_overflow 0
		.amdhsa_tg_split 0
		.amdhsa_exception_fp_ieee_invalid_op 0
		.amdhsa_exception_fp_denorm_src 0
		.amdhsa_exception_fp_ieee_div_zero 0
		.amdhsa_exception_fp_ieee_overflow 0
		.amdhsa_exception_fp_ieee_underflow 0
		.amdhsa_exception_fp_ieee_inexact 0
		.amdhsa_exception_int_div_zero 0
	.end_amdhsa_kernel
	.section	.text._ZN9rocsparseL29bsrmmnt_small_blockdim_kernelILj64ELj16ELj2EliddddEEv20rocsparse_direction_T3_S2_llNS_24const_host_device_scalarIT7_EEPKT2_PKS2_PKT4_PKT5_llS5_PT6_ll16rocsparse_order_21rocsparse_index_base_b,"axG",@progbits,_ZN9rocsparseL29bsrmmnt_small_blockdim_kernelILj64ELj16ELj2EliddddEEv20rocsparse_direction_T3_S2_llNS_24const_host_device_scalarIT7_EEPKT2_PKS2_PKT4_PKT5_llS5_PT6_ll16rocsparse_order_21rocsparse_index_base_b,comdat
.Lfunc_end38:
	.size	_ZN9rocsparseL29bsrmmnt_small_blockdim_kernelILj64ELj16ELj2EliddddEEv20rocsparse_direction_T3_S2_llNS_24const_host_device_scalarIT7_EEPKT2_PKS2_PKT4_PKT5_llS5_PT6_ll16rocsparse_order_21rocsparse_index_base_b, .Lfunc_end38-_ZN9rocsparseL29bsrmmnt_small_blockdim_kernelILj64ELj16ELj2EliddddEEv20rocsparse_direction_T3_S2_llNS_24const_host_device_scalarIT7_EEPKT2_PKS2_PKT4_PKT5_llS5_PT6_ll16rocsparse_order_21rocsparse_index_base_b
                                        ; -- End function
	.section	.AMDGPU.csdata,"",@progbits
; Kernel info:
; codeLenInByte = 1496
; NumSgprs: 33
; NumVgprs: 46
; NumAgprs: 0
; TotalNumVgprs: 46
; ScratchSize: 0
; MemoryBound: 0
; FloatMode: 240
; IeeeMode: 1
; LDSByteSize: 1792 bytes/workgroup (compile time only)
; SGPRBlocks: 4
; VGPRBlocks: 5
; NumSGPRsForWavesPerEU: 33
; NumVGPRsForWavesPerEU: 46
; AccumOffset: 48
; Occupancy: 8
; WaveLimiterHint : 1
; COMPUTE_PGM_RSRC2:SCRATCH_EN: 0
; COMPUTE_PGM_RSRC2:USER_SGPR: 6
; COMPUTE_PGM_RSRC2:TRAP_HANDLER: 0
; COMPUTE_PGM_RSRC2:TGID_X_EN: 1
; COMPUTE_PGM_RSRC2:TGID_Y_EN: 0
; COMPUTE_PGM_RSRC2:TGID_Z_EN: 0
; COMPUTE_PGM_RSRC2:TIDIG_COMP_CNT: 0
; COMPUTE_PGM_RSRC3_GFX90A:ACCUM_OFFSET: 11
; COMPUTE_PGM_RSRC3_GFX90A:TG_SPLIT: 0
	.section	.text._ZN9rocsparseL29bsrmmnt_small_blockdim_kernelILj64ELj32ELj2EliddddEEv20rocsparse_direction_T3_S2_llNS_24const_host_device_scalarIT7_EEPKT2_PKS2_PKT4_PKT5_llS5_PT6_ll16rocsparse_order_21rocsparse_index_base_b,"axG",@progbits,_ZN9rocsparseL29bsrmmnt_small_blockdim_kernelILj64ELj32ELj2EliddddEEv20rocsparse_direction_T3_S2_llNS_24const_host_device_scalarIT7_EEPKT2_PKS2_PKT4_PKT5_llS5_PT6_ll16rocsparse_order_21rocsparse_index_base_b,comdat
	.globl	_ZN9rocsparseL29bsrmmnt_small_blockdim_kernelILj64ELj32ELj2EliddddEEv20rocsparse_direction_T3_S2_llNS_24const_host_device_scalarIT7_EEPKT2_PKS2_PKT4_PKT5_llS5_PT6_ll16rocsparse_order_21rocsparse_index_base_b ; -- Begin function _ZN9rocsparseL29bsrmmnt_small_blockdim_kernelILj64ELj32ELj2EliddddEEv20rocsparse_direction_T3_S2_llNS_24const_host_device_scalarIT7_EEPKT2_PKS2_PKT4_PKT5_llS5_PT6_ll16rocsparse_order_21rocsparse_index_base_b
	.p2align	8
	.type	_ZN9rocsparseL29bsrmmnt_small_blockdim_kernelILj64ELj32ELj2EliddddEEv20rocsparse_direction_T3_S2_llNS_24const_host_device_scalarIT7_EEPKT2_PKS2_PKT4_PKT5_llS5_PT6_ll16rocsparse_order_21rocsparse_index_base_b,@function
_ZN9rocsparseL29bsrmmnt_small_blockdim_kernelILj64ELj32ELj2EliddddEEv20rocsparse_direction_T3_S2_llNS_24const_host_device_scalarIT7_EEPKT2_PKS2_PKT4_PKT5_llS5_PT6_ll16rocsparse_order_21rocsparse_index_base_b: ; @_ZN9rocsparseL29bsrmmnt_small_blockdim_kernelILj64ELj32ELj2EliddddEEv20rocsparse_direction_T3_S2_llNS_24const_host_device_scalarIT7_EEPKT2_PKS2_PKT4_PKT5_llS5_PT6_ll16rocsparse_order_21rocsparse_index_base_b
; %bb.0:
	s_load_dwordx4 s[16:19], s[4:5], 0x78
	s_load_dwordx2 s[8:9], s[4:5], 0x20
	s_load_dwordx2 s[0:1], s[4:5], 0x58
	s_waitcnt lgkmcnt(0)
	s_bitcmp1_b32 s18, 0
	s_cselect_b64 s[10:11], -1, 0
	s_xor_b64 s[2:3], s[10:11], -1
	s_and_b64 vcc, exec, s[10:11]
	v_pk_mov_b32 v[2:3], s[8:9], s[8:9] op_sel:[0,1]
	s_cbranch_vccnz .LBB39_2
; %bb.1:
	v_pk_mov_b32 v[2:3], s[8:9], s[8:9] op_sel:[0,1]
	flat_load_dwordx2 v[2:3], v[2:3]
.LBB39_2:
	s_andn2_b64 vcc, exec, s[2:3]
	v_pk_mov_b32 v[4:5], s[0:1], s[0:1] op_sel:[0,1]
	s_cbranch_vccnz .LBB39_4
; %bb.3:
	v_pk_mov_b32 v[4:5], s[0:1], s[0:1] op_sel:[0,1]
	flat_load_dwordx2 v[4:5], v[4:5]
.LBB39_4:
	s_waitcnt vmcnt(0) lgkmcnt(0)
	v_cmp_neq_f64_e32 vcc, 0, v[2:3]
	v_cmp_neq_f64_e64 s[0:1], 1.0, v[4:5]
	s_or_b64 s[0:1], vcc, s[0:1]
	s_and_saveexec_b64 s[2:3], s[0:1]
	s_cbranch_execz .LBB39_29
; %bb.5:
	s_load_dword s0, s[4:5], 0x94
	s_load_dwordx4 s[20:23], s[4:5], 0x0
	s_waitcnt lgkmcnt(0)
	s_and_b32 s0, s0, 0xffff
	s_mul_i32 s6, s6, s0
	v_add_u32_e32 v1, s6, v0
	v_lshrrev_b32_e32 v6, 6, v1
	v_cmp_gt_i32_e32 vcc, s21, v6
	s_and_b64 exec, exec, vcc
	s_cbranch_execz .LBB39_29
; %bb.6:
	s_cmp_lt_i32 s22, 1
	s_cbranch_scc1 .LBB39_29
; %bb.7:
	s_load_dwordx8 s[8:15], s[4:5], 0x28
	v_lshlrev_b32_e32 v6, 3, v6
	v_lshrrev_b32_e32 v9, 5, v1
	v_bfe_u32 v10, v1, 5, 1
	v_mov_b32_e32 v1, 0x600
	s_waitcnt lgkmcnt(0)
	global_load_dwordx4 v[12:15], v6, s[8:9]
	s_load_dwordx4 s[24:27], s[4:5], 0x60
	s_load_dwordx2 s[6:7], s[4:5], 0x48
	v_and_b32_e32 v6, 31, v0
	v_lshrrev_b32_e32 v0, 5, v0
	s_cmp_lg_u32 s16, 1
	v_lshl_or_b32 v7, v0, 7, v1
	s_cselect_b64 s[8:9], -1, 0
	s_cmp_eq_u32 s20, 0
	v_mul_u32_u24_e32 v1, 3, v6
	s_movk_i32 s4, 0x300
	v_lshlrev_b32_e32 v1, 3, v1
	s_cselect_b64 s[2:3], -1, 0
	v_mul_u32_u24_e32 v11, 0x300, v0
	v_cndmask_b32_e64 v17, 0, 1, s[2:3]
	v_mad_u32_u24 v27, v0, s4, v1
	s_and_b64 s[2:3], s[2:3], exec
	s_waitcnt lgkmcnt(0)
	v_mad_u64_u32 v[0:1], s[2:3], v9, s26, 0
	v_mov_b32_e32 v8, v1
	v_lshlrev_b32_e32 v16, 3, v9
	v_mad_u64_u32 v[8:9], s[2:3], v9, s27, v[8:9]
	v_mov_b32_e32 v18, s25
	v_add_co_u32_e32 v28, vcc, s24, v16
	v_mov_b32_e32 v1, v8
	v_addc_co_u32_e32 v29, vcc, 0, v18, vcc
	v_lshlrev_b64 v[0:1], 3, v[0:1]
	v_add_co_u32_e32 v30, vcc, s24, v0
	v_addc_co_u32_e32 v31, vcc, v18, v1, vcc
	s_mov_b32 s23, 0
	v_cmp_neq_f64_e64 s[0:1], 0, v[4:5]
	v_lshl_or_b32 v26, v6, 2, v7
	s_cselect_b32 s16, 1, 2
	v_lshlrev_b32_e32 v10, v17, v10
	s_waitcnt vmcnt(0)
	v_subrev_co_u32_e32 v0, vcc, s17, v12
	v_subbrev_co_u32_e32 v1, vcc, 0, v13, vcc
	v_subrev_co_u32_e32 v8, vcc, s17, v14
	v_subbrev_co_u32_e32 v9, vcc, 0, v15, vcc
	v_cmp_lt_i64_e64 s[2:3], v[12:13], v[14:15]
	s_branch .LBB39_9
.LBB39_8:                               ;   in Loop: Header=BB39_9 Depth=1
	s_or_b64 exec, exec, s[4:5]
	s_add_i32 s23, s23, 32
	s_cmp_lt_i32 s23, s22
	s_cbranch_scc0 .LBB39_29
.LBB39_9:                               ; =>This Loop Header: Depth=1
                                        ;     Child Loop BB39_12 Depth 2
                                        ;       Child Loop BB39_16 Depth 3
	v_or_b32_e32 v12, s23, v6
	v_pk_mov_b32 v[14:15], 0, 0
	v_ashrrev_i32_e32 v13, 31, v12
	s_and_saveexec_b64 s[18:19], s[2:3]
	s_cbranch_execz .LBB39_18
; %bb.10:                               ;   in Loop: Header=BB39_9 Depth=1
	v_lshlrev_b64 v[14:15], 3, v[12:13]
	v_mov_b32_e32 v16, s15
	v_add_co_u32_e64 v32, s[4:5], s14, v14
	v_addc_co_u32_e64 v33, s[4:5], v16, v15, s[4:5]
	v_pk_mov_b32 v[16:17], 0, 0
	v_cmp_gt_i32_e32 vcc, s22, v12
	s_mov_b64 s[20:21], 0
	v_pk_mov_b32 v[18:19], v[0:1], v[0:1] op_sel:[0,1]
	v_pk_mov_b32 v[14:15], v[16:17], v[16:17] op_sel:[0,1]
	s_branch .LBB39_12
.LBB39_11:                              ;   in Loop: Header=BB39_12 Depth=2
	s_or_b64 exec, exec, s[24:25]
	v_add_co_u32_e64 v18, s[4:5], 32, v18
	v_addc_co_u32_e64 v19, s[4:5], 0, v19, s[4:5]
	v_cmp_ge_i64_e64 s[4:5], v[18:19], v[8:9]
	s_or_b64 s[20:21], s[4:5], s[20:21]
	s_andn2_b64 exec, exec, s[20:21]
	s_cbranch_execz .LBB39_17
.LBB39_12:                              ;   Parent Loop BB39_9 Depth=1
                                        ; =>  This Loop Header: Depth=2
                                        ;       Child Loop BB39_16 Depth 3
	v_add_co_u32_e64 v24, s[4:5], v18, v6
	v_addc_co_u32_e64 v25, s[4:5], 0, v19, s[4:5]
	v_cmp_lt_i64_e64 s[4:5], v[24:25], v[8:9]
	v_mov_b32_e32 v34, 0
	v_pk_mov_b32 v[20:21], v[16:17], v[16:17] op_sel:[0,1]
	v_pk_mov_b32 v[22:23], v[16:17], v[16:17] op_sel:[0,1]
	s_and_saveexec_b64 s[24:25], s[4:5]
	s_cbranch_execz .LBB39_14
; %bb.13:                               ;   in Loop: Header=BB39_12 Depth=2
	v_lshlrev_b64 v[20:21], 2, v[24:25]
	v_mov_b32_e32 v23, s11
	v_add_co_u32_e64 v22, s[4:5], s10, v20
	v_addc_co_u32_e64 v23, s[4:5], v23, v21, s[4:5]
	v_or_b32_e32 v21, 0, v21
	v_or_b32_e32 v20, v20, v10
	global_load_dword v36, v[22:23], off
	v_lshlrev_b64 v[22:23], 3, v[20:21]
	v_mov_b32_e32 v35, s13
	v_add_co_u32_e64 v24, s[4:5], s12, v22
	v_or_b32_e32 v21, 0, v21
	v_or_b32_e32 v20, s16, v20
	v_addc_co_u32_e64 v25, s[4:5], v35, v23, s[4:5]
	v_lshlrev_b64 v[20:21], 3, v[20:21]
	v_add_co_u32_e64 v34, s[4:5], s12, v20
	v_addc_co_u32_e64 v35, s[4:5], v35, v21, s[4:5]
	global_load_dwordx2 v[20:21], v[24:25], off
	global_load_dwordx2 v[22:23], v[34:35], off
	s_waitcnt vmcnt(2)
	v_subrev_u32_e32 v24, s17, v36
	v_lshlrev_b32_e32 v34, 1, v24
.LBB39_14:                              ;   in Loop: Header=BB39_12 Depth=2
	s_or_b64 exec, exec, s[24:25]
	ds_write_b32 v26, v34
	s_waitcnt vmcnt(0)
	ds_write2_b64 v27, v[20:21], v[22:23] offset1:1
	s_waitcnt lgkmcnt(0)
	; wave barrier
	s_waitcnt lgkmcnt(0)
	s_and_saveexec_b64 s[24:25], vcc
	s_cbranch_execz .LBB39_11
; %bb.15:                               ;   in Loop: Header=BB39_12 Depth=2
	s_mov_b32 s28, 0
	v_mov_b32_e32 v20, v11
.LBB39_16:                              ;   Parent Loop BB39_9 Depth=1
                                        ;     Parent Loop BB39_12 Depth=2
                                        ; =>    This Inner Loop Header: Depth=3
	v_add_u32_e32 v21, s28, v7
	ds_read_b64 v[22:23], v21
	s_add_i32 s28, s28, 8
	s_cmpk_lg_i32 s28, 0x80
	s_waitcnt lgkmcnt(0)
	v_ashrrev_i32_e32 v21, 31, v22
	v_mul_lo_u32 v38, v22, s7
	v_mad_u64_u32 v[24:25], s[4:5], v22, s6, 0
	v_mul_lo_u32 v21, v21, s6
	v_add_u32_e32 v22, 1, v22
	v_ashrrev_i32_e32 v36, 31, v23
	v_add_u32_e32 v37, 1, v23
	v_add3_u32 v25, v25, v38, v21
	v_mul_lo_u32 v39, v23, s7
	v_mad_u64_u32 v[34:35], s[4:5], v23, s6, 0
	v_ashrrev_i32_e32 v40, 31, v22
	v_mul_lo_u32 v41, v22, s7
	v_mad_u64_u32 v[22:23], s[4:5], v22, s6, 0
	v_mul_lo_u32 v42, v36, s6
	v_ashrrev_i32_e32 v43, 31, v37
	v_mul_lo_u32 v44, v37, s7
	v_mad_u64_u32 v[36:37], s[4:5], v37, s6, 0
	v_lshlrev_b64 v[24:25], 3, v[24:25]
	v_add3_u32 v35, v35, v39, v42
	v_add_co_u32_e64 v24, s[4:5], v32, v24
	v_mul_lo_u32 v21, v40, s6
	v_lshlrev_b64 v[34:35], 3, v[34:35]
	v_addc_co_u32_e64 v25, s[4:5], v33, v25, s[4:5]
	v_add3_u32 v23, v23, v41, v21
	v_add_co_u32_e64 v34, s[4:5], v32, v34
	v_mul_lo_u32 v38, v43, s6
	v_lshlrev_b64 v[22:23], 3, v[22:23]
	v_addc_co_u32_e64 v35, s[4:5], v33, v35, s[4:5]
	v_add3_u32 v37, v37, v44, v38
	v_add_co_u32_e64 v22, s[4:5], v32, v22
	v_lshlrev_b64 v[36:37], 3, v[36:37]
	v_addc_co_u32_e64 v23, s[4:5], v33, v23, s[4:5]
	v_add_co_u32_e64 v36, s[4:5], v32, v36
	v_addc_co_u32_e64 v37, s[4:5], v33, v37, s[4:5]
	global_load_dwordx2 v[38:39], v[24:25], off
	global_load_dwordx2 v[40:41], v[22:23], off
	;; [unrolled: 1-line block ×4, first 2 shown]
	ds_read_b128 v[22:25], v20
	ds_read2_b64 v[34:37], v20 offset0:3 offset1:4
	v_add_u32_e32 v20, 48, v20
	s_waitcnt vmcnt(3) lgkmcnt(1)
	v_fmac_f64_e32 v[14:15], v[22:23], v[38:39]
	s_waitcnt vmcnt(2)
	v_fmac_f64_e32 v[14:15], v[24:25], v[40:41]
	s_waitcnt vmcnt(1) lgkmcnt(0)
	v_fmac_f64_e32 v[14:15], v[34:35], v[42:43]
	s_waitcnt vmcnt(0)
	v_fmac_f64_e32 v[14:15], v[36:37], v[44:45]
	s_cbranch_scc1 .LBB39_16
	s_branch .LBB39_11
.LBB39_17:                              ;   in Loop: Header=BB39_9 Depth=1
	s_or_b64 exec, exec, s[20:21]
.LBB39_18:                              ;   in Loop: Header=BB39_9 Depth=1
	s_or_b64 exec, exec, s[18:19]
	v_cmp_gt_i32_e32 vcc, s22, v12
	s_and_saveexec_b64 s[4:5], vcc
	s_cbranch_execz .LBB39_8
; %bb.19:                               ;   in Loop: Header=BB39_9 Depth=1
	s_and_saveexec_b64 s[18:19], s[0:1]
	s_xor_b64 s[18:19], exec, s[18:19]
	s_cbranch_execz .LBB39_24
; %bb.20:                               ;   in Loop: Header=BB39_9 Depth=1
	s_mov_b64 s[20:21], -1
	s_and_b64 vcc, exec, s[8:9]
	s_cbranch_vccz .LBB39_22
; %bb.21:                               ;   in Loop: Header=BB39_9 Depth=1
	v_lshlrev_b64 v[16:17], 3, v[12:13]
	v_add_co_u32_e32 v16, vcc, v30, v16
	v_addc_co_u32_e32 v17, vcc, v31, v17, vcc
	global_load_dwordx2 v[18:19], v[16:17], off
	v_mul_f64 v[20:21], v[2:3], v[14:15]
	s_mov_b64 s[20:21], 0
	s_waitcnt vmcnt(0)
	v_fmac_f64_e32 v[20:21], v[4:5], v[18:19]
	global_store_dwordx2 v[16:17], v[20:21], off
.LBB39_22:                              ;   in Loop: Header=BB39_9 Depth=1
	s_andn2_b64 vcc, exec, s[20:21]
	s_cbranch_vccnz .LBB39_24
; %bb.23:                               ;   in Loop: Header=BB39_9 Depth=1
	v_mul_lo_u32 v16, v13, s26
	v_mul_lo_u32 v17, v12, s27
	v_mad_u64_u32 v[12:13], s[20:21], v12, s26, 0
	v_add3_u32 v13, v13, v17, v16
	v_lshlrev_b64 v[12:13], 3, v[12:13]
	v_add_co_u32_e32 v12, vcc, v28, v12
	v_addc_co_u32_e32 v13, vcc, v29, v13, vcc
	global_load_dwordx2 v[16:17], v[12:13], off
	v_mul_f64 v[14:15], v[2:3], v[14:15]
	s_waitcnt vmcnt(0)
	v_fmac_f64_e32 v[14:15], v[4:5], v[16:17]
	global_store_dwordx2 v[12:13], v[14:15], off
                                        ; implicit-def: $vgpr14_vgpr15
                                        ; implicit-def: $vgpr12
.LBB39_24:                              ;   in Loop: Header=BB39_9 Depth=1
	s_andn2_saveexec_b64 s[18:19], s[18:19]
	s_cbranch_execz .LBB39_8
; %bb.25:                               ;   in Loop: Header=BB39_9 Depth=1
	v_mul_f64 v[14:15], v[2:3], v[14:15]
	s_mov_b64 s[18:19], -1
	s_and_b64 vcc, exec, s[8:9]
	s_cbranch_vccz .LBB39_27
; %bb.26:                               ;   in Loop: Header=BB39_9 Depth=1
	v_lshlrev_b64 v[16:17], 3, v[12:13]
	v_add_co_u32_e32 v16, vcc, v30, v16
	v_addc_co_u32_e32 v17, vcc, v31, v17, vcc
	global_store_dwordx2 v[16:17], v[14:15], off
	s_mov_b64 s[18:19], 0
.LBB39_27:                              ;   in Loop: Header=BB39_9 Depth=1
	s_andn2_b64 vcc, exec, s[18:19]
	s_cbranch_vccnz .LBB39_8
; %bb.28:                               ;   in Loop: Header=BB39_9 Depth=1
	v_mul_lo_u32 v16, v13, s26
	v_mul_lo_u32 v17, v12, s27
	v_mad_u64_u32 v[12:13], s[18:19], v12, s26, 0
	v_add3_u32 v13, v13, v17, v16
	v_lshlrev_b64 v[12:13], 3, v[12:13]
	v_add_co_u32_e32 v12, vcc, v28, v12
	v_addc_co_u32_e32 v13, vcc, v29, v13, vcc
	global_store_dwordx2 v[12:13], v[14:15], off
	s_branch .LBB39_8
.LBB39_29:
	s_endpgm
	.section	.rodata,"a",@progbits
	.p2align	6, 0x0
	.amdhsa_kernel _ZN9rocsparseL29bsrmmnt_small_blockdim_kernelILj64ELj32ELj2EliddddEEv20rocsparse_direction_T3_S2_llNS_24const_host_device_scalarIT7_EEPKT2_PKS2_PKT4_PKT5_llS5_PT6_ll16rocsparse_order_21rocsparse_index_base_b
		.amdhsa_group_segment_fixed_size 1792
		.amdhsa_private_segment_fixed_size 0
		.amdhsa_kernarg_size 392
		.amdhsa_user_sgpr_count 6
		.amdhsa_user_sgpr_private_segment_buffer 1
		.amdhsa_user_sgpr_dispatch_ptr 0
		.amdhsa_user_sgpr_queue_ptr 0
		.amdhsa_user_sgpr_kernarg_segment_ptr 1
		.amdhsa_user_sgpr_dispatch_id 0
		.amdhsa_user_sgpr_flat_scratch_init 0
		.amdhsa_user_sgpr_kernarg_preload_length 0
		.amdhsa_user_sgpr_kernarg_preload_offset 0
		.amdhsa_user_sgpr_private_segment_size 0
		.amdhsa_uses_dynamic_stack 0
		.amdhsa_system_sgpr_private_segment_wavefront_offset 0
		.amdhsa_system_sgpr_workgroup_id_x 1
		.amdhsa_system_sgpr_workgroup_id_y 0
		.amdhsa_system_sgpr_workgroup_id_z 0
		.amdhsa_system_sgpr_workgroup_info 0
		.amdhsa_system_vgpr_workitem_id 0
		.amdhsa_next_free_vgpr 46
		.amdhsa_next_free_sgpr 29
		.amdhsa_accum_offset 48
		.amdhsa_reserve_vcc 1
		.amdhsa_reserve_flat_scratch 0
		.amdhsa_float_round_mode_32 0
		.amdhsa_float_round_mode_16_64 0
		.amdhsa_float_denorm_mode_32 3
		.amdhsa_float_denorm_mode_16_64 3
		.amdhsa_dx10_clamp 1
		.amdhsa_ieee_mode 1
		.amdhsa_fp16_overflow 0
		.amdhsa_tg_split 0
		.amdhsa_exception_fp_ieee_invalid_op 0
		.amdhsa_exception_fp_denorm_src 0
		.amdhsa_exception_fp_ieee_div_zero 0
		.amdhsa_exception_fp_ieee_overflow 0
		.amdhsa_exception_fp_ieee_underflow 0
		.amdhsa_exception_fp_ieee_inexact 0
		.amdhsa_exception_int_div_zero 0
	.end_amdhsa_kernel
	.section	.text._ZN9rocsparseL29bsrmmnt_small_blockdim_kernelILj64ELj32ELj2EliddddEEv20rocsparse_direction_T3_S2_llNS_24const_host_device_scalarIT7_EEPKT2_PKS2_PKT4_PKT5_llS5_PT6_ll16rocsparse_order_21rocsparse_index_base_b,"axG",@progbits,_ZN9rocsparseL29bsrmmnt_small_blockdim_kernelILj64ELj32ELj2EliddddEEv20rocsparse_direction_T3_S2_llNS_24const_host_device_scalarIT7_EEPKT2_PKS2_PKT4_PKT5_llS5_PT6_ll16rocsparse_order_21rocsparse_index_base_b,comdat
.Lfunc_end39:
	.size	_ZN9rocsparseL29bsrmmnt_small_blockdim_kernelILj64ELj32ELj2EliddddEEv20rocsparse_direction_T3_S2_llNS_24const_host_device_scalarIT7_EEPKT2_PKS2_PKT4_PKT5_llS5_PT6_ll16rocsparse_order_21rocsparse_index_base_b, .Lfunc_end39-_ZN9rocsparseL29bsrmmnt_small_blockdim_kernelILj64ELj32ELj2EliddddEEv20rocsparse_direction_T3_S2_llNS_24const_host_device_scalarIT7_EEPKT2_PKS2_PKT4_PKT5_llS5_PT6_ll16rocsparse_order_21rocsparse_index_base_b
                                        ; -- End function
	.section	.AMDGPU.csdata,"",@progbits
; Kernel info:
; codeLenInByte = 1496
; NumSgprs: 33
; NumVgprs: 46
; NumAgprs: 0
; TotalNumVgprs: 46
; ScratchSize: 0
; MemoryBound: 0
; FloatMode: 240
; IeeeMode: 1
; LDSByteSize: 1792 bytes/workgroup (compile time only)
; SGPRBlocks: 4
; VGPRBlocks: 5
; NumSGPRsForWavesPerEU: 33
; NumVGPRsForWavesPerEU: 46
; AccumOffset: 48
; Occupancy: 8
; WaveLimiterHint : 1
; COMPUTE_PGM_RSRC2:SCRATCH_EN: 0
; COMPUTE_PGM_RSRC2:USER_SGPR: 6
; COMPUTE_PGM_RSRC2:TRAP_HANDLER: 0
; COMPUTE_PGM_RSRC2:TGID_X_EN: 1
; COMPUTE_PGM_RSRC2:TGID_Y_EN: 0
; COMPUTE_PGM_RSRC2:TGID_Z_EN: 0
; COMPUTE_PGM_RSRC2:TIDIG_COMP_CNT: 0
; COMPUTE_PGM_RSRC3_GFX90A:ACCUM_OFFSET: 11
; COMPUTE_PGM_RSRC3_GFX90A:TG_SPLIT: 0
	.section	.text._ZN9rocsparseL29bsrmmnt_small_blockdim_kernelILj64ELj64ELj2EliddddEEv20rocsparse_direction_T3_S2_llNS_24const_host_device_scalarIT7_EEPKT2_PKS2_PKT4_PKT5_llS5_PT6_ll16rocsparse_order_21rocsparse_index_base_b,"axG",@progbits,_ZN9rocsparseL29bsrmmnt_small_blockdim_kernelILj64ELj64ELj2EliddddEEv20rocsparse_direction_T3_S2_llNS_24const_host_device_scalarIT7_EEPKT2_PKS2_PKT4_PKT5_llS5_PT6_ll16rocsparse_order_21rocsparse_index_base_b,comdat
	.globl	_ZN9rocsparseL29bsrmmnt_small_blockdim_kernelILj64ELj64ELj2EliddddEEv20rocsparse_direction_T3_S2_llNS_24const_host_device_scalarIT7_EEPKT2_PKS2_PKT4_PKT5_llS5_PT6_ll16rocsparse_order_21rocsparse_index_base_b ; -- Begin function _ZN9rocsparseL29bsrmmnt_small_blockdim_kernelILj64ELj64ELj2EliddddEEv20rocsparse_direction_T3_S2_llNS_24const_host_device_scalarIT7_EEPKT2_PKS2_PKT4_PKT5_llS5_PT6_ll16rocsparse_order_21rocsparse_index_base_b
	.p2align	8
	.type	_ZN9rocsparseL29bsrmmnt_small_blockdim_kernelILj64ELj64ELj2EliddddEEv20rocsparse_direction_T3_S2_llNS_24const_host_device_scalarIT7_EEPKT2_PKS2_PKT4_PKT5_llS5_PT6_ll16rocsparse_order_21rocsparse_index_base_b,@function
_ZN9rocsparseL29bsrmmnt_small_blockdim_kernelILj64ELj64ELj2EliddddEEv20rocsparse_direction_T3_S2_llNS_24const_host_device_scalarIT7_EEPKT2_PKS2_PKT4_PKT5_llS5_PT6_ll16rocsparse_order_21rocsparse_index_base_b: ; @_ZN9rocsparseL29bsrmmnt_small_blockdim_kernelILj64ELj64ELj2EliddddEEv20rocsparse_direction_T3_S2_llNS_24const_host_device_scalarIT7_EEPKT2_PKS2_PKT4_PKT5_llS5_PT6_ll16rocsparse_order_21rocsparse_index_base_b
; %bb.0:
	s_load_dwordx4 s[16:19], s[4:5], 0x78
	s_load_dwordx2 s[8:9], s[4:5], 0x20
	s_load_dwordx2 s[0:1], s[4:5], 0x58
	s_waitcnt lgkmcnt(0)
	s_bitcmp1_b32 s18, 0
	s_cselect_b64 s[10:11], -1, 0
	s_xor_b64 s[2:3], s[10:11], -1
	s_and_b64 vcc, exec, s[10:11]
	v_pk_mov_b32 v[2:3], s[8:9], s[8:9] op_sel:[0,1]
	s_cbranch_vccnz .LBB40_2
; %bb.1:
	v_pk_mov_b32 v[2:3], s[8:9], s[8:9] op_sel:[0,1]
	flat_load_dwordx2 v[2:3], v[2:3]
.LBB40_2:
	s_andn2_b64 vcc, exec, s[2:3]
	v_pk_mov_b32 v[4:5], s[0:1], s[0:1] op_sel:[0,1]
	s_cbranch_vccnz .LBB40_4
; %bb.3:
	v_pk_mov_b32 v[4:5], s[0:1], s[0:1] op_sel:[0,1]
	flat_load_dwordx2 v[4:5], v[4:5]
.LBB40_4:
	s_waitcnt vmcnt(0) lgkmcnt(0)
	v_cmp_neq_f64_e32 vcc, 0, v[2:3]
	v_cmp_neq_f64_e64 s[0:1], 1.0, v[4:5]
	s_or_b64 s[0:1], vcc, s[0:1]
	s_and_saveexec_b64 s[2:3], s[0:1]
	s_cbranch_execz .LBB40_29
; %bb.5:
	s_load_dword s0, s[4:5], 0x94
	s_load_dwordx4 s[20:23], s[4:5], 0x0
	s_waitcnt lgkmcnt(0)
	s_and_b32 s0, s0, 0xffff
	s_mul_i32 s6, s6, s0
	v_add_u32_e32 v1, s6, v0
	v_lshrrev_b32_e32 v6, 7, v1
	v_cmp_gt_i32_e32 vcc, s21, v6
	s_and_b64 exec, exec, vcc
	s_cbranch_execz .LBB40_29
; %bb.6:
	s_cmp_lt_i32 s22, 1
	s_cbranch_scc1 .LBB40_29
; %bb.7:
	s_load_dwordx8 s[8:15], s[4:5], 0x28
	v_lshlrev_b32_e32 v6, 3, v6
	s_cmp_lg_u32 s16, 1
	v_lshrrev_b32_e32 v9, 6, v1
	v_lshlrev_b32_e32 v16, 3, v9
	s_waitcnt lgkmcnt(0)
	global_load_dwordx4 v[12:15], v6, s[8:9]
	s_load_dwordx4 s[24:27], s[4:5], 0x60
	s_load_dwordx2 s[6:7], s[4:5], 0x48
	s_cselect_b64 s[8:9], -1, 0
	s_cmp_eq_u32 s20, 0
	v_mul_u32_u24_e32 v6, 3, v0
	s_cselect_b64 s[2:3], -1, 0
	v_lshlrev_b32_e32 v26, 3, v6
	v_cndmask_b32_e64 v17, 0, 1, s[2:3]
	s_and_b64 s[2:3], s[2:3], exec
	s_waitcnt lgkmcnt(0)
	v_mad_u64_u32 v[6:7], s[2:3], v9, s26, 0
	v_mov_b32_e32 v8, v7
	v_mad_u64_u32 v[8:9], s[2:3], v9, s27, v[8:9]
	v_mov_b32_e32 v18, s25
	v_add_co_u32_e32 v27, vcc, s24, v16
	v_mov_b32_e32 v7, v8
	v_addc_co_u32_e32 v28, vcc, 0, v18, vcc
	v_lshlrev_b64 v[6:7], 3, v[6:7]
	v_add_co_u32_e32 v29, vcc, s24, v6
	v_addc_co_u32_e32 v30, vcc, v18, v7, vcc
	v_bfe_u32 v10, v1, 6, 1
	v_mov_b32_e32 v1, 0x600
	s_mov_b32 s23, 0
	v_cmp_neq_f64_e64 s[0:1], 0, v[4:5]
	v_lshl_or_b32 v11, v0, 2, v1
	s_cselect_b32 s16, 1, 2
	v_lshlrev_b32_e32 v10, v17, v10
	s_waitcnt vmcnt(0)
	v_subrev_co_u32_e32 v6, vcc, s17, v12
	v_subbrev_co_u32_e32 v7, vcc, 0, v13, vcc
	v_subrev_co_u32_e32 v8, vcc, s17, v14
	v_subbrev_co_u32_e32 v9, vcc, 0, v15, vcc
	v_cmp_lt_i64_e64 s[2:3], v[12:13], v[14:15]
	s_branch .LBB40_9
.LBB40_8:                               ;   in Loop: Header=BB40_9 Depth=1
	s_or_b64 exec, exec, s[4:5]
	s_add_i32 s23, s23, 64
	s_cmp_lt_i32 s23, s22
	s_cbranch_scc0 .LBB40_29
.LBB40_9:                               ; =>This Loop Header: Depth=1
                                        ;     Child Loop BB40_12 Depth 2
                                        ;       Child Loop BB40_16 Depth 3
	v_or_b32_e32 v12, s23, v0
	v_pk_mov_b32 v[14:15], 0, 0
	v_ashrrev_i32_e32 v13, 31, v12
	s_and_saveexec_b64 s[18:19], s[2:3]
	s_cbranch_execz .LBB40_18
; %bb.10:                               ;   in Loop: Header=BB40_9 Depth=1
	v_lshlrev_b64 v[14:15], 3, v[12:13]
	v_mov_b32_e32 v16, s15
	v_add_co_u32_e64 v31, s[4:5], s14, v14
	v_addc_co_u32_e64 v32, s[4:5], v16, v15, s[4:5]
	v_pk_mov_b32 v[16:17], 0, 0
	v_cmp_gt_i32_e32 vcc, s22, v12
	s_mov_b64 s[20:21], 0
	v_pk_mov_b32 v[18:19], v[6:7], v[6:7] op_sel:[0,1]
	v_pk_mov_b32 v[14:15], v[16:17], v[16:17] op_sel:[0,1]
	s_branch .LBB40_12
.LBB40_11:                              ;   in Loop: Header=BB40_12 Depth=2
	s_or_b64 exec, exec, s[24:25]
	v_add_co_u32_e64 v18, s[4:5], 64, v18
	v_addc_co_u32_e64 v19, s[4:5], 0, v19, s[4:5]
	v_cmp_ge_i64_e64 s[4:5], v[18:19], v[8:9]
	s_or_b64 s[20:21], s[4:5], s[20:21]
	s_andn2_b64 exec, exec, s[20:21]
	s_cbranch_execz .LBB40_17
.LBB40_12:                              ;   Parent Loop BB40_9 Depth=1
                                        ; =>  This Loop Header: Depth=2
                                        ;       Child Loop BB40_16 Depth 3
	v_add_co_u32_e64 v24, s[4:5], v18, v0
	v_addc_co_u32_e64 v25, s[4:5], 0, v19, s[4:5]
	v_cmp_lt_i64_e64 s[4:5], v[24:25], v[8:9]
	v_mov_b32_e32 v33, 0
	v_pk_mov_b32 v[20:21], v[16:17], v[16:17] op_sel:[0,1]
	v_pk_mov_b32 v[22:23], v[16:17], v[16:17] op_sel:[0,1]
	s_and_saveexec_b64 s[24:25], s[4:5]
	s_cbranch_execz .LBB40_14
; %bb.13:                               ;   in Loop: Header=BB40_12 Depth=2
	v_lshlrev_b64 v[20:21], 2, v[24:25]
	v_mov_b32_e32 v23, s11
	v_add_co_u32_e64 v22, s[4:5], s10, v20
	v_addc_co_u32_e64 v23, s[4:5], v23, v21, s[4:5]
	v_or_b32_e32 v21, 0, v21
	v_or_b32_e32 v20, v20, v10
	global_load_dword v33, v[22:23], off
	v_lshlrev_b64 v[22:23], 3, v[20:21]
	v_mov_b32_e32 v35, s13
	v_add_co_u32_e64 v24, s[4:5], s12, v22
	v_or_b32_e32 v21, 0, v21
	v_or_b32_e32 v20, s16, v20
	v_addc_co_u32_e64 v25, s[4:5], v35, v23, s[4:5]
	v_lshlrev_b64 v[20:21], 3, v[20:21]
	v_add_co_u32_e64 v34, s[4:5], s12, v20
	v_addc_co_u32_e64 v35, s[4:5], v35, v21, s[4:5]
	global_load_dwordx2 v[20:21], v[24:25], off
	global_load_dwordx2 v[22:23], v[34:35], off
	s_waitcnt vmcnt(2)
	v_subrev_u32_e32 v24, s17, v33
	v_lshlrev_b32_e32 v33, 1, v24
.LBB40_14:                              ;   in Loop: Header=BB40_12 Depth=2
	s_or_b64 exec, exec, s[24:25]
	ds_write_b32 v11, v33
	s_waitcnt vmcnt(0)
	ds_write2_b64 v26, v[20:21], v[22:23] offset1:1
	s_waitcnt lgkmcnt(0)
	; wave barrier
	s_waitcnt lgkmcnt(0)
	s_and_saveexec_b64 s[24:25], vcc
	s_cbranch_execz .LBB40_11
; %bb.15:                               ;   in Loop: Header=BB40_12 Depth=2
	s_mov_b32 s28, 0
	v_mov_b32_e32 v20, 0
.LBB40_16:                              ;   Parent Loop BB40_9 Depth=1
                                        ;     Parent Loop BB40_12 Depth=2
                                        ; =>    This Inner Loop Header: Depth=3
	v_add_u32_e32 v21, s28, v1
	ds_read_b64 v[22:23], v21
	s_add_i32 s28, s28, 8
	s_cmpk_lg_i32 s28, 0x100
	s_waitcnt lgkmcnt(0)
	v_ashrrev_i32_e32 v21, 31, v22
	v_mul_lo_u32 v33, v22, s7
	v_mad_u64_u32 v[24:25], s[4:5], v22, s6, 0
	v_mul_lo_u32 v21, v21, s6
	v_add_u32_e32 v22, 1, v22
	v_ashrrev_i32_e32 v36, 31, v23
	v_add_u32_e32 v37, 1, v23
	v_add3_u32 v25, v25, v33, v21
	v_mul_lo_u32 v38, v23, s7
	v_mad_u64_u32 v[34:35], s[4:5], v23, s6, 0
	v_ashrrev_i32_e32 v39, 31, v22
	v_mul_lo_u32 v40, v22, s7
	v_mad_u64_u32 v[22:23], s[4:5], v22, s6, 0
	v_mul_lo_u32 v41, v36, s6
	v_ashrrev_i32_e32 v42, 31, v37
	v_mul_lo_u32 v43, v37, s7
	v_mad_u64_u32 v[36:37], s[4:5], v37, s6, 0
	v_lshlrev_b64 v[24:25], 3, v[24:25]
	v_add3_u32 v35, v35, v38, v41
	v_add_co_u32_e64 v24, s[4:5], v31, v24
	v_mul_lo_u32 v21, v39, s6
	v_lshlrev_b64 v[34:35], 3, v[34:35]
	v_addc_co_u32_e64 v25, s[4:5], v32, v25, s[4:5]
	v_add3_u32 v23, v23, v40, v21
	v_add_co_u32_e64 v34, s[4:5], v31, v34
	v_mul_lo_u32 v33, v42, s6
	v_lshlrev_b64 v[22:23], 3, v[22:23]
	v_addc_co_u32_e64 v35, s[4:5], v32, v35, s[4:5]
	v_add3_u32 v37, v37, v43, v33
	v_add_co_u32_e64 v22, s[4:5], v31, v22
	v_lshlrev_b64 v[36:37], 3, v[36:37]
	v_addc_co_u32_e64 v23, s[4:5], v32, v23, s[4:5]
	v_add_co_u32_e64 v36, s[4:5], v31, v36
	v_addc_co_u32_e64 v37, s[4:5], v32, v37, s[4:5]
	global_load_dwordx2 v[38:39], v[24:25], off
	global_load_dwordx2 v[40:41], v[22:23], off
	;; [unrolled: 1-line block ×4, first 2 shown]
	ds_read_b128 v[22:25], v20
	ds_read2_b64 v[34:37], v20 offset0:3 offset1:4
	v_add_u32_e32 v20, 48, v20
	s_waitcnt vmcnt(3) lgkmcnt(1)
	v_fmac_f64_e32 v[14:15], v[22:23], v[38:39]
	s_waitcnt vmcnt(2)
	v_fmac_f64_e32 v[14:15], v[24:25], v[40:41]
	s_waitcnt vmcnt(1) lgkmcnt(0)
	v_fmac_f64_e32 v[14:15], v[34:35], v[42:43]
	s_waitcnt vmcnt(0)
	v_fmac_f64_e32 v[14:15], v[36:37], v[44:45]
	s_cbranch_scc1 .LBB40_16
	s_branch .LBB40_11
.LBB40_17:                              ;   in Loop: Header=BB40_9 Depth=1
	s_or_b64 exec, exec, s[20:21]
.LBB40_18:                              ;   in Loop: Header=BB40_9 Depth=1
	s_or_b64 exec, exec, s[18:19]
	v_cmp_gt_i32_e32 vcc, s22, v12
	s_and_saveexec_b64 s[4:5], vcc
	s_cbranch_execz .LBB40_8
; %bb.19:                               ;   in Loop: Header=BB40_9 Depth=1
	s_and_saveexec_b64 s[18:19], s[0:1]
	s_xor_b64 s[18:19], exec, s[18:19]
	s_cbranch_execz .LBB40_24
; %bb.20:                               ;   in Loop: Header=BB40_9 Depth=1
	s_mov_b64 s[20:21], -1
	s_and_b64 vcc, exec, s[8:9]
	s_cbranch_vccz .LBB40_22
; %bb.21:                               ;   in Loop: Header=BB40_9 Depth=1
	v_lshlrev_b64 v[16:17], 3, v[12:13]
	v_add_co_u32_e32 v16, vcc, v29, v16
	v_addc_co_u32_e32 v17, vcc, v30, v17, vcc
	global_load_dwordx2 v[18:19], v[16:17], off
	v_mul_f64 v[20:21], v[2:3], v[14:15]
	s_mov_b64 s[20:21], 0
	s_waitcnt vmcnt(0)
	v_fmac_f64_e32 v[20:21], v[4:5], v[18:19]
	global_store_dwordx2 v[16:17], v[20:21], off
.LBB40_22:                              ;   in Loop: Header=BB40_9 Depth=1
	s_andn2_b64 vcc, exec, s[20:21]
	s_cbranch_vccnz .LBB40_24
; %bb.23:                               ;   in Loop: Header=BB40_9 Depth=1
	v_mul_lo_u32 v16, v13, s26
	v_mul_lo_u32 v17, v12, s27
	v_mad_u64_u32 v[12:13], s[20:21], v12, s26, 0
	v_add3_u32 v13, v13, v17, v16
	v_lshlrev_b64 v[12:13], 3, v[12:13]
	v_add_co_u32_e32 v12, vcc, v27, v12
	v_addc_co_u32_e32 v13, vcc, v28, v13, vcc
	global_load_dwordx2 v[16:17], v[12:13], off
	v_mul_f64 v[14:15], v[2:3], v[14:15]
	s_waitcnt vmcnt(0)
	v_fmac_f64_e32 v[14:15], v[4:5], v[16:17]
	global_store_dwordx2 v[12:13], v[14:15], off
                                        ; implicit-def: $vgpr14_vgpr15
                                        ; implicit-def: $vgpr12
.LBB40_24:                              ;   in Loop: Header=BB40_9 Depth=1
	s_andn2_saveexec_b64 s[18:19], s[18:19]
	s_cbranch_execz .LBB40_8
; %bb.25:                               ;   in Loop: Header=BB40_9 Depth=1
	v_mul_f64 v[14:15], v[2:3], v[14:15]
	s_mov_b64 s[18:19], -1
	s_and_b64 vcc, exec, s[8:9]
	s_cbranch_vccz .LBB40_27
; %bb.26:                               ;   in Loop: Header=BB40_9 Depth=1
	v_lshlrev_b64 v[16:17], 3, v[12:13]
	v_add_co_u32_e32 v16, vcc, v29, v16
	v_addc_co_u32_e32 v17, vcc, v30, v17, vcc
	global_store_dwordx2 v[16:17], v[14:15], off
	s_mov_b64 s[18:19], 0
.LBB40_27:                              ;   in Loop: Header=BB40_9 Depth=1
	s_andn2_b64 vcc, exec, s[18:19]
	s_cbranch_vccnz .LBB40_8
; %bb.28:                               ;   in Loop: Header=BB40_9 Depth=1
	v_mul_lo_u32 v16, v13, s26
	v_mul_lo_u32 v17, v12, s27
	v_mad_u64_u32 v[12:13], s[18:19], v12, s26, 0
	v_add3_u32 v13, v13, v17, v16
	v_lshlrev_b64 v[12:13], 3, v[12:13]
	v_add_co_u32_e32 v12, vcc, v27, v12
	v_addc_co_u32_e32 v13, vcc, v28, v13, vcc
	global_store_dwordx2 v[12:13], v[14:15], off
	s_branch .LBB40_8
.LBB40_29:
	s_endpgm
	.section	.rodata,"a",@progbits
	.p2align	6, 0x0
	.amdhsa_kernel _ZN9rocsparseL29bsrmmnt_small_blockdim_kernelILj64ELj64ELj2EliddddEEv20rocsparse_direction_T3_S2_llNS_24const_host_device_scalarIT7_EEPKT2_PKS2_PKT4_PKT5_llS5_PT6_ll16rocsparse_order_21rocsparse_index_base_b
		.amdhsa_group_segment_fixed_size 1792
		.amdhsa_private_segment_fixed_size 0
		.amdhsa_kernarg_size 392
		.amdhsa_user_sgpr_count 6
		.amdhsa_user_sgpr_private_segment_buffer 1
		.amdhsa_user_sgpr_dispatch_ptr 0
		.amdhsa_user_sgpr_queue_ptr 0
		.amdhsa_user_sgpr_kernarg_segment_ptr 1
		.amdhsa_user_sgpr_dispatch_id 0
		.amdhsa_user_sgpr_flat_scratch_init 0
		.amdhsa_user_sgpr_kernarg_preload_length 0
		.amdhsa_user_sgpr_kernarg_preload_offset 0
		.amdhsa_user_sgpr_private_segment_size 0
		.amdhsa_uses_dynamic_stack 0
		.amdhsa_system_sgpr_private_segment_wavefront_offset 0
		.amdhsa_system_sgpr_workgroup_id_x 1
		.amdhsa_system_sgpr_workgroup_id_y 0
		.amdhsa_system_sgpr_workgroup_id_z 0
		.amdhsa_system_sgpr_workgroup_info 0
		.amdhsa_system_vgpr_workitem_id 0
		.amdhsa_next_free_vgpr 46
		.amdhsa_next_free_sgpr 29
		.amdhsa_accum_offset 48
		.amdhsa_reserve_vcc 1
		.amdhsa_reserve_flat_scratch 0
		.amdhsa_float_round_mode_32 0
		.amdhsa_float_round_mode_16_64 0
		.amdhsa_float_denorm_mode_32 3
		.amdhsa_float_denorm_mode_16_64 3
		.amdhsa_dx10_clamp 1
		.amdhsa_ieee_mode 1
		.amdhsa_fp16_overflow 0
		.amdhsa_tg_split 0
		.amdhsa_exception_fp_ieee_invalid_op 0
		.amdhsa_exception_fp_denorm_src 0
		.amdhsa_exception_fp_ieee_div_zero 0
		.amdhsa_exception_fp_ieee_overflow 0
		.amdhsa_exception_fp_ieee_underflow 0
		.amdhsa_exception_fp_ieee_inexact 0
		.amdhsa_exception_int_div_zero 0
	.end_amdhsa_kernel
	.section	.text._ZN9rocsparseL29bsrmmnt_small_blockdim_kernelILj64ELj64ELj2EliddddEEv20rocsparse_direction_T3_S2_llNS_24const_host_device_scalarIT7_EEPKT2_PKS2_PKT4_PKT5_llS5_PT6_ll16rocsparse_order_21rocsparse_index_base_b,"axG",@progbits,_ZN9rocsparseL29bsrmmnt_small_blockdim_kernelILj64ELj64ELj2EliddddEEv20rocsparse_direction_T3_S2_llNS_24const_host_device_scalarIT7_EEPKT2_PKS2_PKT4_PKT5_llS5_PT6_ll16rocsparse_order_21rocsparse_index_base_b,comdat
.Lfunc_end40:
	.size	_ZN9rocsparseL29bsrmmnt_small_blockdim_kernelILj64ELj64ELj2EliddddEEv20rocsparse_direction_T3_S2_llNS_24const_host_device_scalarIT7_EEPKT2_PKS2_PKT4_PKT5_llS5_PT6_ll16rocsparse_order_21rocsparse_index_base_b, .Lfunc_end40-_ZN9rocsparseL29bsrmmnt_small_blockdim_kernelILj64ELj64ELj2EliddddEEv20rocsparse_direction_T3_S2_llNS_24const_host_device_scalarIT7_EEPKT2_PKS2_PKT4_PKT5_llS5_PT6_ll16rocsparse_order_21rocsparse_index_base_b
                                        ; -- End function
	.section	.AMDGPU.csdata,"",@progbits
; Kernel info:
; codeLenInByte = 1460
; NumSgprs: 33
; NumVgprs: 46
; NumAgprs: 0
; TotalNumVgprs: 46
; ScratchSize: 0
; MemoryBound: 0
; FloatMode: 240
; IeeeMode: 1
; LDSByteSize: 1792 bytes/workgroup (compile time only)
; SGPRBlocks: 4
; VGPRBlocks: 5
; NumSGPRsForWavesPerEU: 33
; NumVGPRsForWavesPerEU: 46
; AccumOffset: 48
; Occupancy: 8
; WaveLimiterHint : 1
; COMPUTE_PGM_RSRC2:SCRATCH_EN: 0
; COMPUTE_PGM_RSRC2:USER_SGPR: 6
; COMPUTE_PGM_RSRC2:TRAP_HANDLER: 0
; COMPUTE_PGM_RSRC2:TGID_X_EN: 1
; COMPUTE_PGM_RSRC2:TGID_Y_EN: 0
; COMPUTE_PGM_RSRC2:TGID_Z_EN: 0
; COMPUTE_PGM_RSRC2:TIDIG_COMP_CNT: 0
; COMPUTE_PGM_RSRC3_GFX90A:ACCUM_OFFSET: 11
; COMPUTE_PGM_RSRC3_GFX90A:TG_SPLIT: 0
	.section	.text._ZN9rocsparseL29bsrmmnt_small_blockdim_kernelILj64ELj8ELj2EllddddEEv20rocsparse_direction_T3_S2_llNS_24const_host_device_scalarIT7_EEPKT2_PKS2_PKT4_PKT5_llS5_PT6_ll16rocsparse_order_21rocsparse_index_base_b,"axG",@progbits,_ZN9rocsparseL29bsrmmnt_small_blockdim_kernelILj64ELj8ELj2EllddddEEv20rocsparse_direction_T3_S2_llNS_24const_host_device_scalarIT7_EEPKT2_PKS2_PKT4_PKT5_llS5_PT6_ll16rocsparse_order_21rocsparse_index_base_b,comdat
	.globl	_ZN9rocsparseL29bsrmmnt_small_blockdim_kernelILj64ELj8ELj2EllddddEEv20rocsparse_direction_T3_S2_llNS_24const_host_device_scalarIT7_EEPKT2_PKS2_PKT4_PKT5_llS5_PT6_ll16rocsparse_order_21rocsparse_index_base_b ; -- Begin function _ZN9rocsparseL29bsrmmnt_small_blockdim_kernelILj64ELj8ELj2EllddddEEv20rocsparse_direction_T3_S2_llNS_24const_host_device_scalarIT7_EEPKT2_PKS2_PKT4_PKT5_llS5_PT6_ll16rocsparse_order_21rocsparse_index_base_b
	.p2align	8
	.type	_ZN9rocsparseL29bsrmmnt_small_blockdim_kernelILj64ELj8ELj2EllddddEEv20rocsparse_direction_T3_S2_llNS_24const_host_device_scalarIT7_EEPKT2_PKS2_PKT4_PKT5_llS5_PT6_ll16rocsparse_order_21rocsparse_index_base_b,@function
_ZN9rocsparseL29bsrmmnt_small_blockdim_kernelILj64ELj8ELj2EllddddEEv20rocsparse_direction_T3_S2_llNS_24const_host_device_scalarIT7_EEPKT2_PKS2_PKT4_PKT5_llS5_PT6_ll16rocsparse_order_21rocsparse_index_base_b: ; @_ZN9rocsparseL29bsrmmnt_small_blockdim_kernelILj64ELj8ELj2EllddddEEv20rocsparse_direction_T3_S2_llNS_24const_host_device_scalarIT7_EEPKT2_PKS2_PKT4_PKT5_llS5_PT6_ll16rocsparse_order_21rocsparse_index_base_b
; %bb.0:
	s_load_dwordx4 s[24:27], s[4:5], 0x80
	s_load_dwordx2 s[8:9], s[4:5], 0x28
	s_load_dwordx2 s[0:1], s[4:5], 0x60
	s_waitcnt lgkmcnt(0)
	s_bitcmp1_b32 s26, 0
	s_cselect_b64 s[10:11], -1, 0
	s_xor_b64 s[2:3], s[10:11], -1
	s_and_b64 vcc, exec, s[10:11]
	v_pk_mov_b32 v[2:3], s[8:9], s[8:9] op_sel:[0,1]
	s_cbranch_vccnz .LBB41_2
; %bb.1:
	v_pk_mov_b32 v[2:3], s[8:9], s[8:9] op_sel:[0,1]
	flat_load_dwordx2 v[2:3], v[2:3]
.LBB41_2:
	s_andn2_b64 vcc, exec, s[2:3]
	v_pk_mov_b32 v[4:5], s[0:1], s[0:1] op_sel:[0,1]
	s_cbranch_vccnz .LBB41_4
; %bb.3:
	v_pk_mov_b32 v[4:5], s[0:1], s[0:1] op_sel:[0,1]
	flat_load_dwordx2 v[4:5], v[4:5]
.LBB41_4:
	s_waitcnt vmcnt(0) lgkmcnt(0)
	v_cmp_neq_f64_e32 vcc, 0, v[2:3]
	v_cmp_neq_f64_e64 s[0:1], 1.0, v[4:5]
	s_or_b64 s[0:1], vcc, s[0:1]
	s_and_saveexec_b64 s[2:3], s[0:1]
	s_cbranch_execz .LBB41_29
; %bb.5:
	s_load_dword s0, s[4:5], 0x9c
	s_load_dwordx4 s[16:19], s[4:5], 0x8
	v_mov_b32_e32 v7, 0
	s_waitcnt lgkmcnt(0)
	s_and_b32 s0, s0, 0xffff
	s_mul_i32 s6, s6, s0
	v_add_u32_e32 v1, s6, v0
	v_lshrrev_b32_e32 v6, 4, v1
	v_cmp_gt_i64_e32 vcc, s[16:17], v[6:7]
	s_and_b64 exec, exec, vcc
	s_cbranch_execz .LBB41_29
; %bb.6:
	v_cmp_lt_i64_e64 s[0:1], s[18:19], 1
	s_and_b64 vcc, exec, s[0:1]
	s_cbranch_vccnz .LBB41_29
; %bb.7:
	s_load_dwordx8 s[8:15], s[4:5], 0x30
	v_lshlrev_b32_e32 v6, 3, v6
	v_lshrrev_b32_e32 v9, 3, v1
	v_bfe_u32 v14, v1, 3, 1
	v_and_b32_e32 v16, -8, v1
	s_waitcnt lgkmcnt(0)
	global_load_dwordx4 v[10:13], v6, s[8:9]
	s_load_dword s2, s[4:5], 0x0
	s_load_dwordx4 s[20:23], s[4:5], 0x68
	s_load_dwordx2 s[6:7], s[4:5], 0x50
	v_and_b32_e32 v6, 7, v0
	v_mul_u32_u24_e32 v1, 3, v6
	v_lshrrev_b32_e32 v0, 3, v0
	v_mov_b32_e32 v7, 0x600
	s_cmp_lg_u32 s24, 1
	s_movk_i32 s3, 0xc0
	v_lshlrev_b32_e32 v1, 3, v1
	v_lshl_or_b32 v7, v0, 6, v7
	s_cselect_b64 s[16:17], -1, 0
	v_mul_u32_u24_e32 v28, 0xc0, v0
	v_mad_u32_u24 v30, v0, s3, v1
	s_waitcnt lgkmcnt(0)
	s_cmp_eq_u32 s2, 0
	v_mad_u64_u32 v[0:1], s[2:3], v9, s22, 0
	v_mov_b32_e32 v8, v1
	v_mad_u64_u32 v[8:9], s[4:5], v9, s23, v[8:9]
	v_mov_b32_e32 v17, s21
	v_add_co_u32_e32 v31, vcc, s20, v16
	v_mov_b32_e32 v1, v8
	v_addc_co_u32_e32 v32, vcc, 0, v17, vcc
	v_lshlrev_b64 v[0:1], 3, v[0:1]
	v_add_co_u32_e32 v33, vcc, s20, v0
	v_addc_co_u32_e32 v34, vcc, v17, v1, vcc
	s_cselect_b64 s[2:3], -1, 0
	v_mov_b32_e32 v15, 0
	v_cndmask_b32_e64 v16, 0, 1, s[2:3]
	s_and_b64 s[2:3], s[2:3], exec
	s_mov_b32 s28, 0
	s_mov_b32 s29, s25
	s_mov_b64 s[8:9], 0
	v_cmp_neq_f64_e64 s[0:1], 0, v[4:5]
	v_lshl_or_b32 v29, v6, 3, v7
	s_cselect_b32 s30, 1, 2
	s_waitcnt vmcnt(0)
	v_subrev_co_u32_e32 v0, vcc, s25, v10
	v_subbrev_co_u32_e32 v1, vcc, 0, v11, vcc
	v_subrev_co_u32_e32 v8, vcc, s25, v12
	v_subbrev_co_u32_e32 v9, vcc, 0, v13, vcc
	v_cmp_lt_i64_e64 s[2:3], v[10:11], v[12:13]
	v_lshlrev_b64 v[10:11], v16, v[14:15]
	s_branch .LBB41_9
.LBB41_8:                               ;   in Loop: Header=BB41_9 Depth=1
	s_or_b64 exec, exec, s[4:5]
	s_add_u32 s8, s8, 8
	s_addc_u32 s9, s9, 0
	v_pk_mov_b32 v[12:13], s[18:19], s[18:19] op_sel:[0,1]
	v_cmp_lt_i64_e32 vcc, s[8:9], v[12:13]
	s_cbranch_vccz .LBB41_29
.LBB41_9:                               ; =>This Loop Header: Depth=1
                                        ;     Child Loop BB41_12 Depth 2
                                        ;       Child Loop BB41_16 Depth 3
	v_or_b32_e64 v13, s9, 0
	v_or_b32_e32 v12, s8, v6
	v_pk_mov_b32 v[14:15], 0, 0
	s_and_saveexec_b64 s[20:21], s[2:3]
	s_cbranch_execz .LBB41_18
; %bb.10:                               ;   in Loop: Header=BB41_9 Depth=1
	v_lshlrev_b64 v[14:15], 3, v[12:13]
	v_mov_b32_e32 v16, s15
	v_add_co_u32_e64 v35, s[4:5], s14, v14
	v_addc_co_u32_e64 v36, s[4:5], v16, v15, s[4:5]
	v_pk_mov_b32 v[16:17], 0, 0
	v_cmp_gt_i64_e32 vcc, s[18:19], v[12:13]
	s_mov_b64 s[24:25], 0
	v_pk_mov_b32 v[18:19], v[0:1], v[0:1] op_sel:[0,1]
	v_pk_mov_b32 v[14:15], v[16:17], v[16:17] op_sel:[0,1]
	s_branch .LBB41_12
.LBB41_11:                              ;   in Loop: Header=BB41_12 Depth=2
	s_or_b64 exec, exec, s[26:27]
	v_add_co_u32_e64 v18, s[4:5], 8, v18
	v_addc_co_u32_e64 v19, s[4:5], 0, v19, s[4:5]
	v_cmp_ge_i64_e64 s[4:5], v[18:19], v[8:9]
	s_or_b64 s[24:25], s[4:5], s[24:25]
	s_andn2_b64 exec, exec, s[24:25]
	s_cbranch_execz .LBB41_17
.LBB41_12:                              ;   Parent Loop BB41_9 Depth=1
                                        ; =>  This Loop Header: Depth=2
                                        ;       Child Loop BB41_16 Depth 3
	v_add_co_u32_e64 v24, s[4:5], v18, v6
	v_addc_co_u32_e64 v25, s[4:5], 0, v19, s[4:5]
	v_cmp_lt_i64_e64 s[4:5], v[24:25], v[8:9]
	v_pk_mov_b32 v[26:27], v[16:17], v[16:17] op_sel:[0,1]
	v_pk_mov_b32 v[20:21], v[16:17], v[16:17] op_sel:[0,1]
	v_pk_mov_b32 v[22:23], v[16:17], v[16:17] op_sel:[0,1]
	s_and_saveexec_b64 s[26:27], s[4:5]
	s_cbranch_execz .LBB41_14
; %bb.13:                               ;   in Loop: Header=BB41_12 Depth=2
	v_lshlrev_b64 v[20:21], 3, v[24:25]
	v_mov_b32_e32 v22, s11
	v_add_co_u32_e64 v20, s[4:5], s10, v20
	v_addc_co_u32_e64 v21, s[4:5], v22, v21, s[4:5]
	global_load_dwordx2 v[26:27], v[20:21], off
	v_lshlrev_b64 v[20:21], 2, v[24:25]
	v_or_b32_e32 v21, v21, v11
	v_or_b32_e32 v20, v20, v10
	v_lshlrev_b64 v[22:23], 3, v[20:21]
	v_mov_b32_e32 v37, s13
	v_add_co_u32_e64 v24, s[4:5], s12, v22
	v_or_b32_e32 v21, 0, v21
	v_or_b32_e32 v20, s30, v20
	v_addc_co_u32_e64 v25, s[4:5], v37, v23, s[4:5]
	v_lshlrev_b64 v[20:21], 3, v[20:21]
	v_add_co_u32_e64 v38, s[4:5], s12, v20
	v_addc_co_u32_e64 v39, s[4:5], v37, v21, s[4:5]
	global_load_dwordx2 v[20:21], v[24:25], off
	global_load_dwordx2 v[22:23], v[38:39], off
	v_mov_b32_e32 v25, s28
	s_waitcnt vmcnt(2)
	v_subrev_co_u32_e64 v24, s[4:5], s29, v26
	v_subb_co_u32_e64 v25, s[4:5], v27, v25, s[4:5]
	v_lshlrev_b64 v[26:27], 1, v[24:25]
.LBB41_14:                              ;   in Loop: Header=BB41_12 Depth=2
	s_or_b64 exec, exec, s[26:27]
	ds_write_b64 v29, v[26:27]
	s_waitcnt vmcnt(0)
	ds_write2_b64 v30, v[20:21], v[22:23] offset1:1
	s_waitcnt lgkmcnt(0)
	; wave barrier
	s_waitcnt lgkmcnt(0)
	s_and_saveexec_b64 s[26:27], vcc
	s_cbranch_execz .LBB41_11
; %bb.15:                               ;   in Loop: Header=BB41_12 Depth=2
	s_mov_b32 s31, 0
	v_mov_b32_e32 v20, v28
.LBB41_16:                              ;   Parent Loop BB41_9 Depth=1
                                        ;     Parent Loop BB41_12 Depth=2
                                        ; =>    This Inner Loop Header: Depth=3
	v_add_u32_e32 v21, s31, v7
	ds_read_b128 v[22:25], v21
	s_lshl_b64 s[34:35], s[6:7], 3
	v_mov_b32_e32 v21, s35
	s_add_i32 s31, s31, 16
	s_cmp_lg_u32 s31, 64
	s_waitcnt lgkmcnt(0)
	v_mul_lo_u32 v26, v23, s6
	v_mul_lo_u32 v27, v22, s7
	v_mad_u64_u32 v[22:23], s[4:5], v22, s6, 0
	v_add3_u32 v23, v23, v27, v26
	v_mul_lo_u32 v37, v25, s6
	v_mul_lo_u32 v38, v24, s7
	v_mad_u64_u32 v[24:25], s[4:5], v24, s6, 0
	v_lshlrev_b64 v[22:23], 3, v[22:23]
	v_add3_u32 v25, v25, v38, v37
	v_add_co_u32_e64 v22, s[4:5], v35, v22
	v_lshlrev_b64 v[24:25], 3, v[24:25]
	v_addc_co_u32_e64 v23, s[4:5], v36, v23, s[4:5]
	v_add_co_u32_e64 v24, s[4:5], v35, v24
	v_addc_co_u32_e64 v25, s[4:5], v36, v25, s[4:5]
	v_add_co_u32_e64 v26, s[4:5], s34, v22
	;; [unrolled: 2-line block ×3, first 2 shown]
	v_addc_co_u32_e64 v39, s[4:5], v25, v21, s[4:5]
	global_load_dwordx2 v[42:43], v[22:23], off
	global_load_dwordx2 v[44:45], v[26:27], off
	;; [unrolled: 1-line block ×4, first 2 shown]
	ds_read_b128 v[22:25], v20
	ds_read2_b64 v[38:41], v20 offset0:3 offset1:4
	v_add_u32_e32 v20, 48, v20
	s_waitcnt vmcnt(3) lgkmcnt(1)
	v_fmac_f64_e32 v[14:15], v[22:23], v[42:43]
	s_waitcnt vmcnt(2)
	v_fmac_f64_e32 v[14:15], v[24:25], v[44:45]
	s_waitcnt vmcnt(1) lgkmcnt(0)
	v_fmac_f64_e32 v[14:15], v[38:39], v[46:47]
	s_waitcnt vmcnt(0)
	v_fmac_f64_e32 v[14:15], v[40:41], v[48:49]
	s_cbranch_scc1 .LBB41_16
	s_branch .LBB41_11
.LBB41_17:                              ;   in Loop: Header=BB41_9 Depth=1
	s_or_b64 exec, exec, s[24:25]
.LBB41_18:                              ;   in Loop: Header=BB41_9 Depth=1
	s_or_b64 exec, exec, s[20:21]
	v_cmp_gt_i64_e32 vcc, s[18:19], v[12:13]
	s_and_saveexec_b64 s[4:5], vcc
	s_cbranch_execz .LBB41_8
; %bb.19:                               ;   in Loop: Header=BB41_9 Depth=1
	s_and_saveexec_b64 s[20:21], s[0:1]
	s_xor_b64 s[20:21], exec, s[20:21]
	s_cbranch_execz .LBB41_24
; %bb.20:                               ;   in Loop: Header=BB41_9 Depth=1
	s_mov_b64 s[24:25], -1
	s_and_b64 vcc, exec, s[16:17]
	s_cbranch_vccz .LBB41_22
; %bb.21:                               ;   in Loop: Header=BB41_9 Depth=1
	v_lshlrev_b64 v[16:17], 3, v[12:13]
	v_add_co_u32_e32 v16, vcc, v33, v16
	v_addc_co_u32_e32 v17, vcc, v34, v17, vcc
	global_load_dwordx2 v[18:19], v[16:17], off
	v_mul_f64 v[20:21], v[2:3], v[14:15]
	s_mov_b64 s[24:25], 0
	s_waitcnt vmcnt(0)
	v_fmac_f64_e32 v[20:21], v[4:5], v[18:19]
	global_store_dwordx2 v[16:17], v[20:21], off
.LBB41_22:                              ;   in Loop: Header=BB41_9 Depth=1
	s_andn2_b64 vcc, exec, s[24:25]
	s_cbranch_vccnz .LBB41_24
; %bb.23:                               ;   in Loop: Header=BB41_9 Depth=1
	v_mul_lo_u32 v16, v13, s22
	v_mul_lo_u32 v17, v12, s23
	v_mad_u64_u32 v[12:13], s[24:25], v12, s22, 0
	v_add3_u32 v13, v13, v17, v16
	v_lshlrev_b64 v[12:13], 3, v[12:13]
	v_add_co_u32_e32 v12, vcc, v31, v12
	v_addc_co_u32_e32 v13, vcc, v32, v13, vcc
	global_load_dwordx2 v[16:17], v[12:13], off
	v_mul_f64 v[14:15], v[2:3], v[14:15]
	s_waitcnt vmcnt(0)
	v_fmac_f64_e32 v[14:15], v[4:5], v[16:17]
	global_store_dwordx2 v[12:13], v[14:15], off
                                        ; implicit-def: $vgpr12_vgpr13
                                        ; implicit-def: $vgpr14_vgpr15
.LBB41_24:                              ;   in Loop: Header=BB41_9 Depth=1
	s_andn2_saveexec_b64 s[20:21], s[20:21]
	s_cbranch_execz .LBB41_8
; %bb.25:                               ;   in Loop: Header=BB41_9 Depth=1
	v_mul_f64 v[14:15], v[2:3], v[14:15]
	s_mov_b64 s[20:21], -1
	s_and_b64 vcc, exec, s[16:17]
	s_cbranch_vccz .LBB41_27
; %bb.26:                               ;   in Loop: Header=BB41_9 Depth=1
	v_lshlrev_b64 v[16:17], 3, v[12:13]
	v_add_co_u32_e32 v16, vcc, v33, v16
	v_addc_co_u32_e32 v17, vcc, v34, v17, vcc
	global_store_dwordx2 v[16:17], v[14:15], off
	s_mov_b64 s[20:21], 0
.LBB41_27:                              ;   in Loop: Header=BB41_9 Depth=1
	s_andn2_b64 vcc, exec, s[20:21]
	s_cbranch_vccnz .LBB41_8
; %bb.28:                               ;   in Loop: Header=BB41_9 Depth=1
	v_mul_lo_u32 v16, v13, s22
	v_mul_lo_u32 v17, v12, s23
	v_mad_u64_u32 v[12:13], s[20:21], v12, s22, 0
	v_add3_u32 v13, v13, v17, v16
	v_lshlrev_b64 v[12:13], 3, v[12:13]
	v_add_co_u32_e32 v12, vcc, v31, v12
	v_addc_co_u32_e32 v13, vcc, v32, v13, vcc
	global_store_dwordx2 v[12:13], v[14:15], off
	s_branch .LBB41_8
.LBB41_29:
	s_endpgm
	.section	.rodata,"a",@progbits
	.p2align	6, 0x0
	.amdhsa_kernel _ZN9rocsparseL29bsrmmnt_small_blockdim_kernelILj64ELj8ELj2EllddddEEv20rocsparse_direction_T3_S2_llNS_24const_host_device_scalarIT7_EEPKT2_PKS2_PKT4_PKT5_llS5_PT6_ll16rocsparse_order_21rocsparse_index_base_b
		.amdhsa_group_segment_fixed_size 2048
		.amdhsa_private_segment_fixed_size 0
		.amdhsa_kernarg_size 400
		.amdhsa_user_sgpr_count 6
		.amdhsa_user_sgpr_private_segment_buffer 1
		.amdhsa_user_sgpr_dispatch_ptr 0
		.amdhsa_user_sgpr_queue_ptr 0
		.amdhsa_user_sgpr_kernarg_segment_ptr 1
		.amdhsa_user_sgpr_dispatch_id 0
		.amdhsa_user_sgpr_flat_scratch_init 0
		.amdhsa_user_sgpr_kernarg_preload_length 0
		.amdhsa_user_sgpr_kernarg_preload_offset 0
		.amdhsa_user_sgpr_private_segment_size 0
		.amdhsa_uses_dynamic_stack 0
		.amdhsa_system_sgpr_private_segment_wavefront_offset 0
		.amdhsa_system_sgpr_workgroup_id_x 1
		.amdhsa_system_sgpr_workgroup_id_y 0
		.amdhsa_system_sgpr_workgroup_id_z 0
		.amdhsa_system_sgpr_workgroup_info 0
		.amdhsa_system_vgpr_workitem_id 0
		.amdhsa_next_free_vgpr 50
		.amdhsa_next_free_sgpr 36
		.amdhsa_accum_offset 52
		.amdhsa_reserve_vcc 1
		.amdhsa_reserve_flat_scratch 0
		.amdhsa_float_round_mode_32 0
		.amdhsa_float_round_mode_16_64 0
		.amdhsa_float_denorm_mode_32 3
		.amdhsa_float_denorm_mode_16_64 3
		.amdhsa_dx10_clamp 1
		.amdhsa_ieee_mode 1
		.amdhsa_fp16_overflow 0
		.amdhsa_tg_split 0
		.amdhsa_exception_fp_ieee_invalid_op 0
		.amdhsa_exception_fp_denorm_src 0
		.amdhsa_exception_fp_ieee_div_zero 0
		.amdhsa_exception_fp_ieee_overflow 0
		.amdhsa_exception_fp_ieee_underflow 0
		.amdhsa_exception_fp_ieee_inexact 0
		.amdhsa_exception_int_div_zero 0
	.end_amdhsa_kernel
	.section	.text._ZN9rocsparseL29bsrmmnt_small_blockdim_kernelILj64ELj8ELj2EllddddEEv20rocsparse_direction_T3_S2_llNS_24const_host_device_scalarIT7_EEPKT2_PKS2_PKT4_PKT5_llS5_PT6_ll16rocsparse_order_21rocsparse_index_base_b,"axG",@progbits,_ZN9rocsparseL29bsrmmnt_small_blockdim_kernelILj64ELj8ELj2EllddddEEv20rocsparse_direction_T3_S2_llNS_24const_host_device_scalarIT7_EEPKT2_PKS2_PKT4_PKT5_llS5_PT6_ll16rocsparse_order_21rocsparse_index_base_b,comdat
.Lfunc_end41:
	.size	_ZN9rocsparseL29bsrmmnt_small_blockdim_kernelILj64ELj8ELj2EllddddEEv20rocsparse_direction_T3_S2_llNS_24const_host_device_scalarIT7_EEPKT2_PKS2_PKT4_PKT5_llS5_PT6_ll16rocsparse_order_21rocsparse_index_base_b, .Lfunc_end41-_ZN9rocsparseL29bsrmmnt_small_blockdim_kernelILj64ELj8ELj2EllddddEEv20rocsparse_direction_T3_S2_llNS_24const_host_device_scalarIT7_EEPKT2_PKS2_PKT4_PKT5_llS5_PT6_ll16rocsparse_order_21rocsparse_index_base_b
                                        ; -- End function
	.section	.AMDGPU.csdata,"",@progbits
; Kernel info:
; codeLenInByte = 1484
; NumSgprs: 40
; NumVgprs: 50
; NumAgprs: 0
; TotalNumVgprs: 50
; ScratchSize: 0
; MemoryBound: 0
; FloatMode: 240
; IeeeMode: 1
; LDSByteSize: 2048 bytes/workgroup (compile time only)
; SGPRBlocks: 4
; VGPRBlocks: 6
; NumSGPRsForWavesPerEU: 40
; NumVGPRsForWavesPerEU: 50
; AccumOffset: 52
; Occupancy: 8
; WaveLimiterHint : 1
; COMPUTE_PGM_RSRC2:SCRATCH_EN: 0
; COMPUTE_PGM_RSRC2:USER_SGPR: 6
; COMPUTE_PGM_RSRC2:TRAP_HANDLER: 0
; COMPUTE_PGM_RSRC2:TGID_X_EN: 1
; COMPUTE_PGM_RSRC2:TGID_Y_EN: 0
; COMPUTE_PGM_RSRC2:TGID_Z_EN: 0
; COMPUTE_PGM_RSRC2:TIDIG_COMP_CNT: 0
; COMPUTE_PGM_RSRC3_GFX90A:ACCUM_OFFSET: 12
; COMPUTE_PGM_RSRC3_GFX90A:TG_SPLIT: 0
	.section	.text._ZN9rocsparseL29bsrmmnt_small_blockdim_kernelILj64ELj16ELj2EllddddEEv20rocsparse_direction_T3_S2_llNS_24const_host_device_scalarIT7_EEPKT2_PKS2_PKT4_PKT5_llS5_PT6_ll16rocsparse_order_21rocsparse_index_base_b,"axG",@progbits,_ZN9rocsparseL29bsrmmnt_small_blockdim_kernelILj64ELj16ELj2EllddddEEv20rocsparse_direction_T3_S2_llNS_24const_host_device_scalarIT7_EEPKT2_PKS2_PKT4_PKT5_llS5_PT6_ll16rocsparse_order_21rocsparse_index_base_b,comdat
	.globl	_ZN9rocsparseL29bsrmmnt_small_blockdim_kernelILj64ELj16ELj2EllddddEEv20rocsparse_direction_T3_S2_llNS_24const_host_device_scalarIT7_EEPKT2_PKS2_PKT4_PKT5_llS5_PT6_ll16rocsparse_order_21rocsparse_index_base_b ; -- Begin function _ZN9rocsparseL29bsrmmnt_small_blockdim_kernelILj64ELj16ELj2EllddddEEv20rocsparse_direction_T3_S2_llNS_24const_host_device_scalarIT7_EEPKT2_PKS2_PKT4_PKT5_llS5_PT6_ll16rocsparse_order_21rocsparse_index_base_b
	.p2align	8
	.type	_ZN9rocsparseL29bsrmmnt_small_blockdim_kernelILj64ELj16ELj2EllddddEEv20rocsparse_direction_T3_S2_llNS_24const_host_device_scalarIT7_EEPKT2_PKS2_PKT4_PKT5_llS5_PT6_ll16rocsparse_order_21rocsparse_index_base_b,@function
_ZN9rocsparseL29bsrmmnt_small_blockdim_kernelILj64ELj16ELj2EllddddEEv20rocsparse_direction_T3_S2_llNS_24const_host_device_scalarIT7_EEPKT2_PKS2_PKT4_PKT5_llS5_PT6_ll16rocsparse_order_21rocsparse_index_base_b: ; @_ZN9rocsparseL29bsrmmnt_small_blockdim_kernelILj64ELj16ELj2EllddddEEv20rocsparse_direction_T3_S2_llNS_24const_host_device_scalarIT7_EEPKT2_PKS2_PKT4_PKT5_llS5_PT6_ll16rocsparse_order_21rocsparse_index_base_b
; %bb.0:
	s_load_dwordx4 s[24:27], s[4:5], 0x80
	s_load_dwordx2 s[8:9], s[4:5], 0x28
	s_load_dwordx2 s[0:1], s[4:5], 0x60
	s_waitcnt lgkmcnt(0)
	s_bitcmp1_b32 s26, 0
	s_cselect_b64 s[10:11], -1, 0
	s_xor_b64 s[2:3], s[10:11], -1
	s_and_b64 vcc, exec, s[10:11]
	v_pk_mov_b32 v[2:3], s[8:9], s[8:9] op_sel:[0,1]
	s_cbranch_vccnz .LBB42_2
; %bb.1:
	v_pk_mov_b32 v[2:3], s[8:9], s[8:9] op_sel:[0,1]
	flat_load_dwordx2 v[2:3], v[2:3]
.LBB42_2:
	s_andn2_b64 vcc, exec, s[2:3]
	v_pk_mov_b32 v[4:5], s[0:1], s[0:1] op_sel:[0,1]
	s_cbranch_vccnz .LBB42_4
; %bb.3:
	v_pk_mov_b32 v[4:5], s[0:1], s[0:1] op_sel:[0,1]
	flat_load_dwordx2 v[4:5], v[4:5]
.LBB42_4:
	s_waitcnt vmcnt(0) lgkmcnt(0)
	v_cmp_neq_f64_e32 vcc, 0, v[2:3]
	v_cmp_neq_f64_e64 s[0:1], 1.0, v[4:5]
	s_or_b64 s[0:1], vcc, s[0:1]
	s_and_saveexec_b64 s[2:3], s[0:1]
	s_cbranch_execz .LBB42_29
; %bb.5:
	s_load_dword s0, s[4:5], 0x9c
	s_load_dwordx4 s[16:19], s[4:5], 0x8
	v_mov_b32_e32 v7, 0
	s_waitcnt lgkmcnt(0)
	s_and_b32 s0, s0, 0xffff
	s_mul_i32 s6, s6, s0
	v_add_u32_e32 v1, s6, v0
	v_lshrrev_b32_e32 v6, 5, v1
	v_cmp_gt_i64_e32 vcc, s[16:17], v[6:7]
	s_and_b64 exec, exec, vcc
	s_cbranch_execz .LBB42_29
; %bb.6:
	v_cmp_lt_i64_e64 s[0:1], s[18:19], 1
	s_and_b64 vcc, exec, s[0:1]
	s_cbranch_vccnz .LBB42_29
; %bb.7:
	s_load_dwordx8 s[8:15], s[4:5], 0x30
	v_lshlrev_b32_e32 v6, 3, v6
	v_lshrrev_b32_e32 v9, 4, v1
	v_bfe_u32 v14, v1, 4, 1
	v_mov_b32_e32 v1, 0x600
	s_waitcnt lgkmcnt(0)
	global_load_dwordx4 v[10:13], v6, s[8:9]
	s_load_dword s2, s[4:5], 0x0
	s_load_dwordx4 s[20:23], s[4:5], 0x68
	s_load_dwordx2 s[6:7], s[4:5], 0x50
	v_and_b32_e32 v6, 15, v0
	v_lshrrev_b32_e32 v0, 4, v0
	v_lshl_or_b32 v7, v0, 7, v1
	v_mul_u32_u24_e32 v1, 3, v6
	s_cmp_lg_u32 s24, 1
	s_movk_i32 s3, 0x180
	v_lshlrev_b32_e32 v1, 3, v1
	s_cselect_b64 s[16:17], -1, 0
	v_mul_u32_u24_e32 v28, 0x180, v0
	v_mad_u32_u24 v30, v0, s3, v1
	s_waitcnt lgkmcnt(0)
	s_cmp_eq_u32 s2, 0
	v_mad_u64_u32 v[0:1], s[2:3], v9, s22, 0
	v_mov_b32_e32 v8, v1
	v_lshlrev_b32_e32 v16, 3, v9
	v_mad_u64_u32 v[8:9], s[4:5], v9, s23, v[8:9]
	v_mov_b32_e32 v17, s21
	v_add_co_u32_e32 v31, vcc, s20, v16
	v_mov_b32_e32 v1, v8
	v_addc_co_u32_e32 v32, vcc, 0, v17, vcc
	v_lshlrev_b64 v[0:1], 3, v[0:1]
	v_add_co_u32_e32 v33, vcc, s20, v0
	v_addc_co_u32_e32 v34, vcc, v17, v1, vcc
	s_cselect_b64 s[2:3], -1, 0
	v_mov_b32_e32 v15, 0
	v_cndmask_b32_e64 v16, 0, 1, s[2:3]
	s_and_b64 s[2:3], s[2:3], exec
	s_mov_b32 s28, 0
	s_mov_b32 s29, s25
	s_mov_b64 s[8:9], 0
	v_cmp_neq_f64_e64 s[0:1], 0, v[4:5]
	v_lshl_or_b32 v29, v6, 3, v7
	s_cselect_b32 s30, 1, 2
	s_waitcnt vmcnt(0)
	v_subrev_co_u32_e32 v0, vcc, s25, v10
	v_subbrev_co_u32_e32 v1, vcc, 0, v11, vcc
	v_subrev_co_u32_e32 v8, vcc, s25, v12
	v_subbrev_co_u32_e32 v9, vcc, 0, v13, vcc
	v_cmp_lt_i64_e64 s[2:3], v[10:11], v[12:13]
	v_lshlrev_b64 v[10:11], v16, v[14:15]
	s_branch .LBB42_9
.LBB42_8:                               ;   in Loop: Header=BB42_9 Depth=1
	s_or_b64 exec, exec, s[4:5]
	s_add_u32 s8, s8, 16
	s_addc_u32 s9, s9, 0
	v_pk_mov_b32 v[12:13], s[18:19], s[18:19] op_sel:[0,1]
	v_cmp_lt_i64_e32 vcc, s[8:9], v[12:13]
	s_cbranch_vccz .LBB42_29
.LBB42_9:                               ; =>This Loop Header: Depth=1
                                        ;     Child Loop BB42_12 Depth 2
                                        ;       Child Loop BB42_16 Depth 3
	v_or_b32_e64 v13, s9, 0
	v_or_b32_e32 v12, s8, v6
	v_pk_mov_b32 v[14:15], 0, 0
	s_and_saveexec_b64 s[20:21], s[2:3]
	s_cbranch_execz .LBB42_18
; %bb.10:                               ;   in Loop: Header=BB42_9 Depth=1
	v_lshlrev_b64 v[14:15], 3, v[12:13]
	v_mov_b32_e32 v16, s15
	v_add_co_u32_e64 v35, s[4:5], s14, v14
	v_addc_co_u32_e64 v36, s[4:5], v16, v15, s[4:5]
	v_pk_mov_b32 v[16:17], 0, 0
	v_cmp_gt_i64_e32 vcc, s[18:19], v[12:13]
	s_mov_b64 s[24:25], 0
	v_pk_mov_b32 v[18:19], v[0:1], v[0:1] op_sel:[0,1]
	v_pk_mov_b32 v[14:15], v[16:17], v[16:17] op_sel:[0,1]
	s_branch .LBB42_12
.LBB42_11:                              ;   in Loop: Header=BB42_12 Depth=2
	s_or_b64 exec, exec, s[26:27]
	v_add_co_u32_e64 v18, s[4:5], 16, v18
	v_addc_co_u32_e64 v19, s[4:5], 0, v19, s[4:5]
	v_cmp_ge_i64_e64 s[4:5], v[18:19], v[8:9]
	s_or_b64 s[24:25], s[4:5], s[24:25]
	s_andn2_b64 exec, exec, s[24:25]
	s_cbranch_execz .LBB42_17
.LBB42_12:                              ;   Parent Loop BB42_9 Depth=1
                                        ; =>  This Loop Header: Depth=2
                                        ;       Child Loop BB42_16 Depth 3
	v_add_co_u32_e64 v24, s[4:5], v18, v6
	v_addc_co_u32_e64 v25, s[4:5], 0, v19, s[4:5]
	v_cmp_lt_i64_e64 s[4:5], v[24:25], v[8:9]
	v_pk_mov_b32 v[26:27], v[16:17], v[16:17] op_sel:[0,1]
	v_pk_mov_b32 v[20:21], v[16:17], v[16:17] op_sel:[0,1]
	;; [unrolled: 1-line block ×3, first 2 shown]
	s_and_saveexec_b64 s[26:27], s[4:5]
	s_cbranch_execz .LBB42_14
; %bb.13:                               ;   in Loop: Header=BB42_12 Depth=2
	v_lshlrev_b64 v[20:21], 3, v[24:25]
	v_mov_b32_e32 v22, s11
	v_add_co_u32_e64 v20, s[4:5], s10, v20
	v_addc_co_u32_e64 v21, s[4:5], v22, v21, s[4:5]
	global_load_dwordx2 v[26:27], v[20:21], off
	v_lshlrev_b64 v[20:21], 2, v[24:25]
	v_or_b32_e32 v21, v21, v11
	v_or_b32_e32 v20, v20, v10
	v_lshlrev_b64 v[22:23], 3, v[20:21]
	v_mov_b32_e32 v37, s13
	v_add_co_u32_e64 v24, s[4:5], s12, v22
	v_or_b32_e32 v21, 0, v21
	v_or_b32_e32 v20, s30, v20
	v_addc_co_u32_e64 v25, s[4:5], v37, v23, s[4:5]
	v_lshlrev_b64 v[20:21], 3, v[20:21]
	v_add_co_u32_e64 v38, s[4:5], s12, v20
	v_addc_co_u32_e64 v39, s[4:5], v37, v21, s[4:5]
	global_load_dwordx2 v[20:21], v[24:25], off
	global_load_dwordx2 v[22:23], v[38:39], off
	v_mov_b32_e32 v25, s28
	s_waitcnt vmcnt(2)
	v_subrev_co_u32_e64 v24, s[4:5], s29, v26
	v_subb_co_u32_e64 v25, s[4:5], v27, v25, s[4:5]
	v_lshlrev_b64 v[26:27], 1, v[24:25]
.LBB42_14:                              ;   in Loop: Header=BB42_12 Depth=2
	s_or_b64 exec, exec, s[26:27]
	ds_write_b64 v29, v[26:27]
	s_waitcnt vmcnt(0)
	ds_write2_b64 v30, v[20:21], v[22:23] offset1:1
	s_waitcnt lgkmcnt(0)
	; wave barrier
	s_waitcnt lgkmcnt(0)
	s_and_saveexec_b64 s[26:27], vcc
	s_cbranch_execz .LBB42_11
; %bb.15:                               ;   in Loop: Header=BB42_12 Depth=2
	s_mov_b32 s31, 0
	v_mov_b32_e32 v20, v28
.LBB42_16:                              ;   Parent Loop BB42_9 Depth=1
                                        ;     Parent Loop BB42_12 Depth=2
                                        ; =>    This Inner Loop Header: Depth=3
	v_add_u32_e32 v21, s31, v7
	ds_read_b128 v[22:25], v21
	s_lshl_b64 s[34:35], s[6:7], 3
	v_mov_b32_e32 v21, s35
	s_add_i32 s31, s31, 16
	s_cmpk_lg_i32 s31, 0x80
	s_waitcnt lgkmcnt(0)
	v_mul_lo_u32 v26, v23, s6
	v_mul_lo_u32 v27, v22, s7
	v_mad_u64_u32 v[22:23], s[4:5], v22, s6, 0
	v_add3_u32 v23, v23, v27, v26
	v_mul_lo_u32 v37, v25, s6
	v_mul_lo_u32 v38, v24, s7
	v_mad_u64_u32 v[24:25], s[4:5], v24, s6, 0
	v_lshlrev_b64 v[22:23], 3, v[22:23]
	v_add3_u32 v25, v25, v38, v37
	v_add_co_u32_e64 v22, s[4:5], v35, v22
	v_lshlrev_b64 v[24:25], 3, v[24:25]
	v_addc_co_u32_e64 v23, s[4:5], v36, v23, s[4:5]
	v_add_co_u32_e64 v24, s[4:5], v35, v24
	v_addc_co_u32_e64 v25, s[4:5], v36, v25, s[4:5]
	v_add_co_u32_e64 v26, s[4:5], s34, v22
	;; [unrolled: 2-line block ×3, first 2 shown]
	v_addc_co_u32_e64 v39, s[4:5], v25, v21, s[4:5]
	global_load_dwordx2 v[42:43], v[22:23], off
	global_load_dwordx2 v[44:45], v[26:27], off
	;; [unrolled: 1-line block ×4, first 2 shown]
	ds_read_b128 v[22:25], v20
	ds_read2_b64 v[38:41], v20 offset0:3 offset1:4
	v_add_u32_e32 v20, 48, v20
	s_waitcnt vmcnt(3) lgkmcnt(1)
	v_fmac_f64_e32 v[14:15], v[22:23], v[42:43]
	s_waitcnt vmcnt(2)
	v_fmac_f64_e32 v[14:15], v[24:25], v[44:45]
	s_waitcnt vmcnt(1) lgkmcnt(0)
	v_fmac_f64_e32 v[14:15], v[38:39], v[46:47]
	s_waitcnt vmcnt(0)
	v_fmac_f64_e32 v[14:15], v[40:41], v[48:49]
	s_cbranch_scc1 .LBB42_16
	s_branch .LBB42_11
.LBB42_17:                              ;   in Loop: Header=BB42_9 Depth=1
	s_or_b64 exec, exec, s[24:25]
.LBB42_18:                              ;   in Loop: Header=BB42_9 Depth=1
	s_or_b64 exec, exec, s[20:21]
	v_cmp_gt_i64_e32 vcc, s[18:19], v[12:13]
	s_and_saveexec_b64 s[4:5], vcc
	s_cbranch_execz .LBB42_8
; %bb.19:                               ;   in Loop: Header=BB42_9 Depth=1
	s_and_saveexec_b64 s[20:21], s[0:1]
	s_xor_b64 s[20:21], exec, s[20:21]
	s_cbranch_execz .LBB42_24
; %bb.20:                               ;   in Loop: Header=BB42_9 Depth=1
	s_mov_b64 s[24:25], -1
	s_and_b64 vcc, exec, s[16:17]
	s_cbranch_vccz .LBB42_22
; %bb.21:                               ;   in Loop: Header=BB42_9 Depth=1
	v_lshlrev_b64 v[16:17], 3, v[12:13]
	v_add_co_u32_e32 v16, vcc, v33, v16
	v_addc_co_u32_e32 v17, vcc, v34, v17, vcc
	global_load_dwordx2 v[18:19], v[16:17], off
	v_mul_f64 v[20:21], v[2:3], v[14:15]
	s_mov_b64 s[24:25], 0
	s_waitcnt vmcnt(0)
	v_fmac_f64_e32 v[20:21], v[4:5], v[18:19]
	global_store_dwordx2 v[16:17], v[20:21], off
.LBB42_22:                              ;   in Loop: Header=BB42_9 Depth=1
	s_andn2_b64 vcc, exec, s[24:25]
	s_cbranch_vccnz .LBB42_24
; %bb.23:                               ;   in Loop: Header=BB42_9 Depth=1
	v_mul_lo_u32 v16, v13, s22
	v_mul_lo_u32 v17, v12, s23
	v_mad_u64_u32 v[12:13], s[24:25], v12, s22, 0
	v_add3_u32 v13, v13, v17, v16
	v_lshlrev_b64 v[12:13], 3, v[12:13]
	v_add_co_u32_e32 v12, vcc, v31, v12
	v_addc_co_u32_e32 v13, vcc, v32, v13, vcc
	global_load_dwordx2 v[16:17], v[12:13], off
	v_mul_f64 v[14:15], v[2:3], v[14:15]
	s_waitcnt vmcnt(0)
	v_fmac_f64_e32 v[14:15], v[4:5], v[16:17]
	global_store_dwordx2 v[12:13], v[14:15], off
                                        ; implicit-def: $vgpr12_vgpr13
                                        ; implicit-def: $vgpr14_vgpr15
.LBB42_24:                              ;   in Loop: Header=BB42_9 Depth=1
	s_andn2_saveexec_b64 s[20:21], s[20:21]
	s_cbranch_execz .LBB42_8
; %bb.25:                               ;   in Loop: Header=BB42_9 Depth=1
	v_mul_f64 v[14:15], v[2:3], v[14:15]
	s_mov_b64 s[20:21], -1
	s_and_b64 vcc, exec, s[16:17]
	s_cbranch_vccz .LBB42_27
; %bb.26:                               ;   in Loop: Header=BB42_9 Depth=1
	v_lshlrev_b64 v[16:17], 3, v[12:13]
	v_add_co_u32_e32 v16, vcc, v33, v16
	v_addc_co_u32_e32 v17, vcc, v34, v17, vcc
	global_store_dwordx2 v[16:17], v[14:15], off
	s_mov_b64 s[20:21], 0
.LBB42_27:                              ;   in Loop: Header=BB42_9 Depth=1
	s_andn2_b64 vcc, exec, s[20:21]
	s_cbranch_vccnz .LBB42_8
; %bb.28:                               ;   in Loop: Header=BB42_9 Depth=1
	v_mul_lo_u32 v16, v13, s22
	v_mul_lo_u32 v17, v12, s23
	v_mad_u64_u32 v[12:13], s[20:21], v12, s22, 0
	v_add3_u32 v13, v13, v17, v16
	v_lshlrev_b64 v[12:13], 3, v[12:13]
	v_add_co_u32_e32 v12, vcc, v31, v12
	v_addc_co_u32_e32 v13, vcc, v32, v13, vcc
	global_store_dwordx2 v[12:13], v[14:15], off
	s_branch .LBB42_8
.LBB42_29:
	s_endpgm
	.section	.rodata,"a",@progbits
	.p2align	6, 0x0
	.amdhsa_kernel _ZN9rocsparseL29bsrmmnt_small_blockdim_kernelILj64ELj16ELj2EllddddEEv20rocsparse_direction_T3_S2_llNS_24const_host_device_scalarIT7_EEPKT2_PKS2_PKT4_PKT5_llS5_PT6_ll16rocsparse_order_21rocsparse_index_base_b
		.amdhsa_group_segment_fixed_size 2048
		.amdhsa_private_segment_fixed_size 0
		.amdhsa_kernarg_size 400
		.amdhsa_user_sgpr_count 6
		.amdhsa_user_sgpr_private_segment_buffer 1
		.amdhsa_user_sgpr_dispatch_ptr 0
		.amdhsa_user_sgpr_queue_ptr 0
		.amdhsa_user_sgpr_kernarg_segment_ptr 1
		.amdhsa_user_sgpr_dispatch_id 0
		.amdhsa_user_sgpr_flat_scratch_init 0
		.amdhsa_user_sgpr_kernarg_preload_length 0
		.amdhsa_user_sgpr_kernarg_preload_offset 0
		.amdhsa_user_sgpr_private_segment_size 0
		.amdhsa_uses_dynamic_stack 0
		.amdhsa_system_sgpr_private_segment_wavefront_offset 0
		.amdhsa_system_sgpr_workgroup_id_x 1
		.amdhsa_system_sgpr_workgroup_id_y 0
		.amdhsa_system_sgpr_workgroup_id_z 0
		.amdhsa_system_sgpr_workgroup_info 0
		.amdhsa_system_vgpr_workitem_id 0
		.amdhsa_next_free_vgpr 50
		.amdhsa_next_free_sgpr 36
		.amdhsa_accum_offset 52
		.amdhsa_reserve_vcc 1
		.amdhsa_reserve_flat_scratch 0
		.amdhsa_float_round_mode_32 0
		.amdhsa_float_round_mode_16_64 0
		.amdhsa_float_denorm_mode_32 3
		.amdhsa_float_denorm_mode_16_64 3
		.amdhsa_dx10_clamp 1
		.amdhsa_ieee_mode 1
		.amdhsa_fp16_overflow 0
		.amdhsa_tg_split 0
		.amdhsa_exception_fp_ieee_invalid_op 0
		.amdhsa_exception_fp_denorm_src 0
		.amdhsa_exception_fp_ieee_div_zero 0
		.amdhsa_exception_fp_ieee_overflow 0
		.amdhsa_exception_fp_ieee_underflow 0
		.amdhsa_exception_fp_ieee_inexact 0
		.amdhsa_exception_int_div_zero 0
	.end_amdhsa_kernel
	.section	.text._ZN9rocsparseL29bsrmmnt_small_blockdim_kernelILj64ELj16ELj2EllddddEEv20rocsparse_direction_T3_S2_llNS_24const_host_device_scalarIT7_EEPKT2_PKS2_PKT4_PKT5_llS5_PT6_ll16rocsparse_order_21rocsparse_index_base_b,"axG",@progbits,_ZN9rocsparseL29bsrmmnt_small_blockdim_kernelILj64ELj16ELj2EllddddEEv20rocsparse_direction_T3_S2_llNS_24const_host_device_scalarIT7_EEPKT2_PKS2_PKT4_PKT5_llS5_PT6_ll16rocsparse_order_21rocsparse_index_base_b,comdat
.Lfunc_end42:
	.size	_ZN9rocsparseL29bsrmmnt_small_blockdim_kernelILj64ELj16ELj2EllddddEEv20rocsparse_direction_T3_S2_llNS_24const_host_device_scalarIT7_EEPKT2_PKS2_PKT4_PKT5_llS5_PT6_ll16rocsparse_order_21rocsparse_index_base_b, .Lfunc_end42-_ZN9rocsparseL29bsrmmnt_small_blockdim_kernelILj64ELj16ELj2EllddddEEv20rocsparse_direction_T3_S2_llNS_24const_host_device_scalarIT7_EEPKT2_PKS2_PKT4_PKT5_llS5_PT6_ll16rocsparse_order_21rocsparse_index_base_b
                                        ; -- End function
	.section	.AMDGPU.csdata,"",@progbits
; Kernel info:
; codeLenInByte = 1484
; NumSgprs: 40
; NumVgprs: 50
; NumAgprs: 0
; TotalNumVgprs: 50
; ScratchSize: 0
; MemoryBound: 0
; FloatMode: 240
; IeeeMode: 1
; LDSByteSize: 2048 bytes/workgroup (compile time only)
; SGPRBlocks: 4
; VGPRBlocks: 6
; NumSGPRsForWavesPerEU: 40
; NumVGPRsForWavesPerEU: 50
; AccumOffset: 52
; Occupancy: 8
; WaveLimiterHint : 1
; COMPUTE_PGM_RSRC2:SCRATCH_EN: 0
; COMPUTE_PGM_RSRC2:USER_SGPR: 6
; COMPUTE_PGM_RSRC2:TRAP_HANDLER: 0
; COMPUTE_PGM_RSRC2:TGID_X_EN: 1
; COMPUTE_PGM_RSRC2:TGID_Y_EN: 0
; COMPUTE_PGM_RSRC2:TGID_Z_EN: 0
; COMPUTE_PGM_RSRC2:TIDIG_COMP_CNT: 0
; COMPUTE_PGM_RSRC3_GFX90A:ACCUM_OFFSET: 12
; COMPUTE_PGM_RSRC3_GFX90A:TG_SPLIT: 0
	.section	.text._ZN9rocsparseL29bsrmmnt_small_blockdim_kernelILj64ELj32ELj2EllddddEEv20rocsparse_direction_T3_S2_llNS_24const_host_device_scalarIT7_EEPKT2_PKS2_PKT4_PKT5_llS5_PT6_ll16rocsparse_order_21rocsparse_index_base_b,"axG",@progbits,_ZN9rocsparseL29bsrmmnt_small_blockdim_kernelILj64ELj32ELj2EllddddEEv20rocsparse_direction_T3_S2_llNS_24const_host_device_scalarIT7_EEPKT2_PKS2_PKT4_PKT5_llS5_PT6_ll16rocsparse_order_21rocsparse_index_base_b,comdat
	.globl	_ZN9rocsparseL29bsrmmnt_small_blockdim_kernelILj64ELj32ELj2EllddddEEv20rocsparse_direction_T3_S2_llNS_24const_host_device_scalarIT7_EEPKT2_PKS2_PKT4_PKT5_llS5_PT6_ll16rocsparse_order_21rocsparse_index_base_b ; -- Begin function _ZN9rocsparseL29bsrmmnt_small_blockdim_kernelILj64ELj32ELj2EllddddEEv20rocsparse_direction_T3_S2_llNS_24const_host_device_scalarIT7_EEPKT2_PKS2_PKT4_PKT5_llS5_PT6_ll16rocsparse_order_21rocsparse_index_base_b
	.p2align	8
	.type	_ZN9rocsparseL29bsrmmnt_small_blockdim_kernelILj64ELj32ELj2EllddddEEv20rocsparse_direction_T3_S2_llNS_24const_host_device_scalarIT7_EEPKT2_PKS2_PKT4_PKT5_llS5_PT6_ll16rocsparse_order_21rocsparse_index_base_b,@function
_ZN9rocsparseL29bsrmmnt_small_blockdim_kernelILj64ELj32ELj2EllddddEEv20rocsparse_direction_T3_S2_llNS_24const_host_device_scalarIT7_EEPKT2_PKS2_PKT4_PKT5_llS5_PT6_ll16rocsparse_order_21rocsparse_index_base_b: ; @_ZN9rocsparseL29bsrmmnt_small_blockdim_kernelILj64ELj32ELj2EllddddEEv20rocsparse_direction_T3_S2_llNS_24const_host_device_scalarIT7_EEPKT2_PKS2_PKT4_PKT5_llS5_PT6_ll16rocsparse_order_21rocsparse_index_base_b
; %bb.0:
	s_load_dwordx4 s[24:27], s[4:5], 0x80
	s_load_dwordx2 s[8:9], s[4:5], 0x28
	s_load_dwordx2 s[0:1], s[4:5], 0x60
	s_waitcnt lgkmcnt(0)
	s_bitcmp1_b32 s26, 0
	s_cselect_b64 s[10:11], -1, 0
	s_xor_b64 s[2:3], s[10:11], -1
	s_and_b64 vcc, exec, s[10:11]
	v_pk_mov_b32 v[2:3], s[8:9], s[8:9] op_sel:[0,1]
	s_cbranch_vccnz .LBB43_2
; %bb.1:
	v_pk_mov_b32 v[2:3], s[8:9], s[8:9] op_sel:[0,1]
	flat_load_dwordx2 v[2:3], v[2:3]
.LBB43_2:
	s_andn2_b64 vcc, exec, s[2:3]
	v_pk_mov_b32 v[4:5], s[0:1], s[0:1] op_sel:[0,1]
	s_cbranch_vccnz .LBB43_4
; %bb.3:
	v_pk_mov_b32 v[4:5], s[0:1], s[0:1] op_sel:[0,1]
	flat_load_dwordx2 v[4:5], v[4:5]
.LBB43_4:
	s_waitcnt vmcnt(0) lgkmcnt(0)
	v_cmp_neq_f64_e32 vcc, 0, v[2:3]
	v_cmp_neq_f64_e64 s[0:1], 1.0, v[4:5]
	s_or_b64 s[0:1], vcc, s[0:1]
	s_and_saveexec_b64 s[2:3], s[0:1]
	s_cbranch_execz .LBB43_29
; %bb.5:
	s_load_dword s0, s[4:5], 0x9c
	s_load_dwordx4 s[16:19], s[4:5], 0x8
	v_mov_b32_e32 v7, 0
	s_waitcnt lgkmcnt(0)
	s_and_b32 s0, s0, 0xffff
	s_mul_i32 s6, s6, s0
	v_add_u32_e32 v1, s6, v0
	v_lshrrev_b32_e32 v6, 6, v1
	v_cmp_gt_i64_e32 vcc, s[16:17], v[6:7]
	s_and_b64 exec, exec, vcc
	s_cbranch_execz .LBB43_29
; %bb.6:
	v_cmp_lt_i64_e64 s[0:1], s[18:19], 1
	s_and_b64 vcc, exec, s[0:1]
	s_cbranch_vccnz .LBB43_29
; %bb.7:
	s_load_dwordx8 s[8:15], s[4:5], 0x30
	v_lshlrev_b32_e32 v6, 3, v6
	v_lshrrev_b32_e32 v9, 5, v1
	v_bfe_u32 v14, v1, 5, 1
	v_mov_b32_e32 v1, 0x600
	s_waitcnt lgkmcnt(0)
	global_load_dwordx4 v[10:13], v6, s[8:9]
	s_load_dword s2, s[4:5], 0x0
	s_load_dwordx4 s[20:23], s[4:5], 0x68
	s_load_dwordx2 s[6:7], s[4:5], 0x50
	v_and_b32_e32 v6, 31, v0
	v_lshrrev_b32_e32 v0, 5, v0
	v_lshl_or_b32 v7, v0, 8, v1
	v_mul_u32_u24_e32 v1, 3, v6
	s_cmp_lg_u32 s24, 1
	s_movk_i32 s3, 0x300
	v_lshlrev_b32_e32 v1, 3, v1
	s_cselect_b64 s[16:17], -1, 0
	v_mul_u32_u24_e32 v28, 0x300, v0
	v_mad_u32_u24 v30, v0, s3, v1
	s_waitcnt lgkmcnt(0)
	s_cmp_eq_u32 s2, 0
	v_mad_u64_u32 v[0:1], s[2:3], v9, s22, 0
	v_mov_b32_e32 v8, v1
	v_lshlrev_b32_e32 v16, 3, v9
	v_mad_u64_u32 v[8:9], s[4:5], v9, s23, v[8:9]
	v_mov_b32_e32 v17, s21
	v_add_co_u32_e32 v31, vcc, s20, v16
	v_mov_b32_e32 v1, v8
	v_addc_co_u32_e32 v32, vcc, 0, v17, vcc
	v_lshlrev_b64 v[0:1], 3, v[0:1]
	v_add_co_u32_e32 v33, vcc, s20, v0
	v_addc_co_u32_e32 v34, vcc, v17, v1, vcc
	s_cselect_b64 s[2:3], -1, 0
	v_mov_b32_e32 v15, 0
	v_cndmask_b32_e64 v16, 0, 1, s[2:3]
	s_and_b64 s[2:3], s[2:3], exec
	s_mov_b32 s28, 0
	s_mov_b32 s29, s25
	s_mov_b64 s[8:9], 0
	v_cmp_neq_f64_e64 s[0:1], 0, v[4:5]
	v_lshl_or_b32 v29, v6, 3, v7
	s_cselect_b32 s30, 1, 2
	s_waitcnt vmcnt(0)
	v_subrev_co_u32_e32 v0, vcc, s25, v10
	v_subbrev_co_u32_e32 v1, vcc, 0, v11, vcc
	v_subrev_co_u32_e32 v8, vcc, s25, v12
	v_subbrev_co_u32_e32 v9, vcc, 0, v13, vcc
	v_cmp_lt_i64_e64 s[2:3], v[10:11], v[12:13]
	v_lshlrev_b64 v[10:11], v16, v[14:15]
	s_branch .LBB43_9
.LBB43_8:                               ;   in Loop: Header=BB43_9 Depth=1
	s_or_b64 exec, exec, s[4:5]
	s_add_u32 s8, s8, 32
	s_addc_u32 s9, s9, 0
	v_pk_mov_b32 v[12:13], s[18:19], s[18:19] op_sel:[0,1]
	v_cmp_lt_i64_e32 vcc, s[8:9], v[12:13]
	s_cbranch_vccz .LBB43_29
.LBB43_9:                               ; =>This Loop Header: Depth=1
                                        ;     Child Loop BB43_12 Depth 2
                                        ;       Child Loop BB43_16 Depth 3
	v_or_b32_e64 v13, s9, 0
	v_or_b32_e32 v12, s8, v6
	v_pk_mov_b32 v[14:15], 0, 0
	s_and_saveexec_b64 s[20:21], s[2:3]
	s_cbranch_execz .LBB43_18
; %bb.10:                               ;   in Loop: Header=BB43_9 Depth=1
	v_lshlrev_b64 v[14:15], 3, v[12:13]
	v_mov_b32_e32 v16, s15
	v_add_co_u32_e64 v35, s[4:5], s14, v14
	v_addc_co_u32_e64 v36, s[4:5], v16, v15, s[4:5]
	v_pk_mov_b32 v[16:17], 0, 0
	v_cmp_gt_i64_e32 vcc, s[18:19], v[12:13]
	s_mov_b64 s[24:25], 0
	v_pk_mov_b32 v[18:19], v[0:1], v[0:1] op_sel:[0,1]
	v_pk_mov_b32 v[14:15], v[16:17], v[16:17] op_sel:[0,1]
	s_branch .LBB43_12
.LBB43_11:                              ;   in Loop: Header=BB43_12 Depth=2
	s_or_b64 exec, exec, s[26:27]
	v_add_co_u32_e64 v18, s[4:5], 32, v18
	v_addc_co_u32_e64 v19, s[4:5], 0, v19, s[4:5]
	v_cmp_ge_i64_e64 s[4:5], v[18:19], v[8:9]
	s_or_b64 s[24:25], s[4:5], s[24:25]
	s_andn2_b64 exec, exec, s[24:25]
	s_cbranch_execz .LBB43_17
.LBB43_12:                              ;   Parent Loop BB43_9 Depth=1
                                        ; =>  This Loop Header: Depth=2
                                        ;       Child Loop BB43_16 Depth 3
	v_add_co_u32_e64 v24, s[4:5], v18, v6
	v_addc_co_u32_e64 v25, s[4:5], 0, v19, s[4:5]
	v_cmp_lt_i64_e64 s[4:5], v[24:25], v[8:9]
	v_pk_mov_b32 v[26:27], v[16:17], v[16:17] op_sel:[0,1]
	v_pk_mov_b32 v[20:21], v[16:17], v[16:17] op_sel:[0,1]
	;; [unrolled: 1-line block ×3, first 2 shown]
	s_and_saveexec_b64 s[26:27], s[4:5]
	s_cbranch_execz .LBB43_14
; %bb.13:                               ;   in Loop: Header=BB43_12 Depth=2
	v_lshlrev_b64 v[20:21], 3, v[24:25]
	v_mov_b32_e32 v22, s11
	v_add_co_u32_e64 v20, s[4:5], s10, v20
	v_addc_co_u32_e64 v21, s[4:5], v22, v21, s[4:5]
	global_load_dwordx2 v[26:27], v[20:21], off
	v_lshlrev_b64 v[20:21], 2, v[24:25]
	v_or_b32_e32 v21, v21, v11
	v_or_b32_e32 v20, v20, v10
	v_lshlrev_b64 v[22:23], 3, v[20:21]
	v_mov_b32_e32 v37, s13
	v_add_co_u32_e64 v24, s[4:5], s12, v22
	v_or_b32_e32 v21, 0, v21
	v_or_b32_e32 v20, s30, v20
	v_addc_co_u32_e64 v25, s[4:5], v37, v23, s[4:5]
	v_lshlrev_b64 v[20:21], 3, v[20:21]
	v_add_co_u32_e64 v38, s[4:5], s12, v20
	v_addc_co_u32_e64 v39, s[4:5], v37, v21, s[4:5]
	global_load_dwordx2 v[20:21], v[24:25], off
	global_load_dwordx2 v[22:23], v[38:39], off
	v_mov_b32_e32 v25, s28
	s_waitcnt vmcnt(2)
	v_subrev_co_u32_e64 v24, s[4:5], s29, v26
	v_subb_co_u32_e64 v25, s[4:5], v27, v25, s[4:5]
	v_lshlrev_b64 v[26:27], 1, v[24:25]
.LBB43_14:                              ;   in Loop: Header=BB43_12 Depth=2
	s_or_b64 exec, exec, s[26:27]
	ds_write_b64 v29, v[26:27]
	s_waitcnt vmcnt(0)
	ds_write2_b64 v30, v[20:21], v[22:23] offset1:1
	s_waitcnt lgkmcnt(0)
	; wave barrier
	s_waitcnt lgkmcnt(0)
	s_and_saveexec_b64 s[26:27], vcc
	s_cbranch_execz .LBB43_11
; %bb.15:                               ;   in Loop: Header=BB43_12 Depth=2
	s_mov_b32 s31, 0
	v_mov_b32_e32 v20, v28
.LBB43_16:                              ;   Parent Loop BB43_9 Depth=1
                                        ;     Parent Loop BB43_12 Depth=2
                                        ; =>    This Inner Loop Header: Depth=3
	v_add_u32_e32 v21, s31, v7
	ds_read_b128 v[22:25], v21
	s_lshl_b64 s[34:35], s[6:7], 3
	v_mov_b32_e32 v21, s35
	s_add_i32 s31, s31, 16
	s_cmpk_lg_i32 s31, 0x100
	s_waitcnt lgkmcnt(0)
	v_mul_lo_u32 v26, v23, s6
	v_mul_lo_u32 v27, v22, s7
	v_mad_u64_u32 v[22:23], s[4:5], v22, s6, 0
	v_add3_u32 v23, v23, v27, v26
	v_mul_lo_u32 v37, v25, s6
	v_mul_lo_u32 v38, v24, s7
	v_mad_u64_u32 v[24:25], s[4:5], v24, s6, 0
	v_lshlrev_b64 v[22:23], 3, v[22:23]
	v_add3_u32 v25, v25, v38, v37
	v_add_co_u32_e64 v22, s[4:5], v35, v22
	v_lshlrev_b64 v[24:25], 3, v[24:25]
	v_addc_co_u32_e64 v23, s[4:5], v36, v23, s[4:5]
	v_add_co_u32_e64 v24, s[4:5], v35, v24
	v_addc_co_u32_e64 v25, s[4:5], v36, v25, s[4:5]
	v_add_co_u32_e64 v26, s[4:5], s34, v22
	v_addc_co_u32_e64 v27, s[4:5], v23, v21, s[4:5]
	v_add_co_u32_e64 v38, s[4:5], s34, v24
	v_addc_co_u32_e64 v39, s[4:5], v25, v21, s[4:5]
	global_load_dwordx2 v[42:43], v[22:23], off
	global_load_dwordx2 v[44:45], v[26:27], off
	;; [unrolled: 1-line block ×4, first 2 shown]
	ds_read_b128 v[22:25], v20
	ds_read2_b64 v[38:41], v20 offset0:3 offset1:4
	v_add_u32_e32 v20, 48, v20
	s_waitcnt vmcnt(3) lgkmcnt(1)
	v_fmac_f64_e32 v[14:15], v[22:23], v[42:43]
	s_waitcnt vmcnt(2)
	v_fmac_f64_e32 v[14:15], v[24:25], v[44:45]
	s_waitcnt vmcnt(1) lgkmcnt(0)
	v_fmac_f64_e32 v[14:15], v[38:39], v[46:47]
	s_waitcnt vmcnt(0)
	v_fmac_f64_e32 v[14:15], v[40:41], v[48:49]
	s_cbranch_scc1 .LBB43_16
	s_branch .LBB43_11
.LBB43_17:                              ;   in Loop: Header=BB43_9 Depth=1
	s_or_b64 exec, exec, s[24:25]
.LBB43_18:                              ;   in Loop: Header=BB43_9 Depth=1
	s_or_b64 exec, exec, s[20:21]
	v_cmp_gt_i64_e32 vcc, s[18:19], v[12:13]
	s_and_saveexec_b64 s[4:5], vcc
	s_cbranch_execz .LBB43_8
; %bb.19:                               ;   in Loop: Header=BB43_9 Depth=1
	s_and_saveexec_b64 s[20:21], s[0:1]
	s_xor_b64 s[20:21], exec, s[20:21]
	s_cbranch_execz .LBB43_24
; %bb.20:                               ;   in Loop: Header=BB43_9 Depth=1
	s_mov_b64 s[24:25], -1
	s_and_b64 vcc, exec, s[16:17]
	s_cbranch_vccz .LBB43_22
; %bb.21:                               ;   in Loop: Header=BB43_9 Depth=1
	v_lshlrev_b64 v[16:17], 3, v[12:13]
	v_add_co_u32_e32 v16, vcc, v33, v16
	v_addc_co_u32_e32 v17, vcc, v34, v17, vcc
	global_load_dwordx2 v[18:19], v[16:17], off
	v_mul_f64 v[20:21], v[2:3], v[14:15]
	s_mov_b64 s[24:25], 0
	s_waitcnt vmcnt(0)
	v_fmac_f64_e32 v[20:21], v[4:5], v[18:19]
	global_store_dwordx2 v[16:17], v[20:21], off
.LBB43_22:                              ;   in Loop: Header=BB43_9 Depth=1
	s_andn2_b64 vcc, exec, s[24:25]
	s_cbranch_vccnz .LBB43_24
; %bb.23:                               ;   in Loop: Header=BB43_9 Depth=1
	v_mul_lo_u32 v16, v13, s22
	v_mul_lo_u32 v17, v12, s23
	v_mad_u64_u32 v[12:13], s[24:25], v12, s22, 0
	v_add3_u32 v13, v13, v17, v16
	v_lshlrev_b64 v[12:13], 3, v[12:13]
	v_add_co_u32_e32 v12, vcc, v31, v12
	v_addc_co_u32_e32 v13, vcc, v32, v13, vcc
	global_load_dwordx2 v[16:17], v[12:13], off
	v_mul_f64 v[14:15], v[2:3], v[14:15]
	s_waitcnt vmcnt(0)
	v_fmac_f64_e32 v[14:15], v[4:5], v[16:17]
	global_store_dwordx2 v[12:13], v[14:15], off
                                        ; implicit-def: $vgpr12_vgpr13
                                        ; implicit-def: $vgpr14_vgpr15
.LBB43_24:                              ;   in Loop: Header=BB43_9 Depth=1
	s_andn2_saveexec_b64 s[20:21], s[20:21]
	s_cbranch_execz .LBB43_8
; %bb.25:                               ;   in Loop: Header=BB43_9 Depth=1
	v_mul_f64 v[14:15], v[2:3], v[14:15]
	s_mov_b64 s[20:21], -1
	s_and_b64 vcc, exec, s[16:17]
	s_cbranch_vccz .LBB43_27
; %bb.26:                               ;   in Loop: Header=BB43_9 Depth=1
	v_lshlrev_b64 v[16:17], 3, v[12:13]
	v_add_co_u32_e32 v16, vcc, v33, v16
	v_addc_co_u32_e32 v17, vcc, v34, v17, vcc
	global_store_dwordx2 v[16:17], v[14:15], off
	s_mov_b64 s[20:21], 0
.LBB43_27:                              ;   in Loop: Header=BB43_9 Depth=1
	s_andn2_b64 vcc, exec, s[20:21]
	s_cbranch_vccnz .LBB43_8
; %bb.28:                               ;   in Loop: Header=BB43_9 Depth=1
	v_mul_lo_u32 v16, v13, s22
	v_mul_lo_u32 v17, v12, s23
	v_mad_u64_u32 v[12:13], s[20:21], v12, s22, 0
	v_add3_u32 v13, v13, v17, v16
	v_lshlrev_b64 v[12:13], 3, v[12:13]
	v_add_co_u32_e32 v12, vcc, v31, v12
	v_addc_co_u32_e32 v13, vcc, v32, v13, vcc
	global_store_dwordx2 v[12:13], v[14:15], off
	s_branch .LBB43_8
.LBB43_29:
	s_endpgm
	.section	.rodata,"a",@progbits
	.p2align	6, 0x0
	.amdhsa_kernel _ZN9rocsparseL29bsrmmnt_small_blockdim_kernelILj64ELj32ELj2EllddddEEv20rocsparse_direction_T3_S2_llNS_24const_host_device_scalarIT7_EEPKT2_PKS2_PKT4_PKT5_llS5_PT6_ll16rocsparse_order_21rocsparse_index_base_b
		.amdhsa_group_segment_fixed_size 2048
		.amdhsa_private_segment_fixed_size 0
		.amdhsa_kernarg_size 400
		.amdhsa_user_sgpr_count 6
		.amdhsa_user_sgpr_private_segment_buffer 1
		.amdhsa_user_sgpr_dispatch_ptr 0
		.amdhsa_user_sgpr_queue_ptr 0
		.amdhsa_user_sgpr_kernarg_segment_ptr 1
		.amdhsa_user_sgpr_dispatch_id 0
		.amdhsa_user_sgpr_flat_scratch_init 0
		.amdhsa_user_sgpr_kernarg_preload_length 0
		.amdhsa_user_sgpr_kernarg_preload_offset 0
		.amdhsa_user_sgpr_private_segment_size 0
		.amdhsa_uses_dynamic_stack 0
		.amdhsa_system_sgpr_private_segment_wavefront_offset 0
		.amdhsa_system_sgpr_workgroup_id_x 1
		.amdhsa_system_sgpr_workgroup_id_y 0
		.amdhsa_system_sgpr_workgroup_id_z 0
		.amdhsa_system_sgpr_workgroup_info 0
		.amdhsa_system_vgpr_workitem_id 0
		.amdhsa_next_free_vgpr 50
		.amdhsa_next_free_sgpr 36
		.amdhsa_accum_offset 52
		.amdhsa_reserve_vcc 1
		.amdhsa_reserve_flat_scratch 0
		.amdhsa_float_round_mode_32 0
		.amdhsa_float_round_mode_16_64 0
		.amdhsa_float_denorm_mode_32 3
		.amdhsa_float_denorm_mode_16_64 3
		.amdhsa_dx10_clamp 1
		.amdhsa_ieee_mode 1
		.amdhsa_fp16_overflow 0
		.amdhsa_tg_split 0
		.amdhsa_exception_fp_ieee_invalid_op 0
		.amdhsa_exception_fp_denorm_src 0
		.amdhsa_exception_fp_ieee_div_zero 0
		.amdhsa_exception_fp_ieee_overflow 0
		.amdhsa_exception_fp_ieee_underflow 0
		.amdhsa_exception_fp_ieee_inexact 0
		.amdhsa_exception_int_div_zero 0
	.end_amdhsa_kernel
	.section	.text._ZN9rocsparseL29bsrmmnt_small_blockdim_kernelILj64ELj32ELj2EllddddEEv20rocsparse_direction_T3_S2_llNS_24const_host_device_scalarIT7_EEPKT2_PKS2_PKT4_PKT5_llS5_PT6_ll16rocsparse_order_21rocsparse_index_base_b,"axG",@progbits,_ZN9rocsparseL29bsrmmnt_small_blockdim_kernelILj64ELj32ELj2EllddddEEv20rocsparse_direction_T3_S2_llNS_24const_host_device_scalarIT7_EEPKT2_PKS2_PKT4_PKT5_llS5_PT6_ll16rocsparse_order_21rocsparse_index_base_b,comdat
.Lfunc_end43:
	.size	_ZN9rocsparseL29bsrmmnt_small_blockdim_kernelILj64ELj32ELj2EllddddEEv20rocsparse_direction_T3_S2_llNS_24const_host_device_scalarIT7_EEPKT2_PKS2_PKT4_PKT5_llS5_PT6_ll16rocsparse_order_21rocsparse_index_base_b, .Lfunc_end43-_ZN9rocsparseL29bsrmmnt_small_blockdim_kernelILj64ELj32ELj2EllddddEEv20rocsparse_direction_T3_S2_llNS_24const_host_device_scalarIT7_EEPKT2_PKS2_PKT4_PKT5_llS5_PT6_ll16rocsparse_order_21rocsparse_index_base_b
                                        ; -- End function
	.section	.AMDGPU.csdata,"",@progbits
; Kernel info:
; codeLenInByte = 1484
; NumSgprs: 40
; NumVgprs: 50
; NumAgprs: 0
; TotalNumVgprs: 50
; ScratchSize: 0
; MemoryBound: 0
; FloatMode: 240
; IeeeMode: 1
; LDSByteSize: 2048 bytes/workgroup (compile time only)
; SGPRBlocks: 4
; VGPRBlocks: 6
; NumSGPRsForWavesPerEU: 40
; NumVGPRsForWavesPerEU: 50
; AccumOffset: 52
; Occupancy: 8
; WaveLimiterHint : 1
; COMPUTE_PGM_RSRC2:SCRATCH_EN: 0
; COMPUTE_PGM_RSRC2:USER_SGPR: 6
; COMPUTE_PGM_RSRC2:TRAP_HANDLER: 0
; COMPUTE_PGM_RSRC2:TGID_X_EN: 1
; COMPUTE_PGM_RSRC2:TGID_Y_EN: 0
; COMPUTE_PGM_RSRC2:TGID_Z_EN: 0
; COMPUTE_PGM_RSRC2:TIDIG_COMP_CNT: 0
; COMPUTE_PGM_RSRC3_GFX90A:ACCUM_OFFSET: 12
; COMPUTE_PGM_RSRC3_GFX90A:TG_SPLIT: 0
	.section	.text._ZN9rocsparseL29bsrmmnt_small_blockdim_kernelILj64ELj64ELj2EllddddEEv20rocsparse_direction_T3_S2_llNS_24const_host_device_scalarIT7_EEPKT2_PKS2_PKT4_PKT5_llS5_PT6_ll16rocsparse_order_21rocsparse_index_base_b,"axG",@progbits,_ZN9rocsparseL29bsrmmnt_small_blockdim_kernelILj64ELj64ELj2EllddddEEv20rocsparse_direction_T3_S2_llNS_24const_host_device_scalarIT7_EEPKT2_PKS2_PKT4_PKT5_llS5_PT6_ll16rocsparse_order_21rocsparse_index_base_b,comdat
	.globl	_ZN9rocsparseL29bsrmmnt_small_blockdim_kernelILj64ELj64ELj2EllddddEEv20rocsparse_direction_T3_S2_llNS_24const_host_device_scalarIT7_EEPKT2_PKS2_PKT4_PKT5_llS5_PT6_ll16rocsparse_order_21rocsparse_index_base_b ; -- Begin function _ZN9rocsparseL29bsrmmnt_small_blockdim_kernelILj64ELj64ELj2EllddddEEv20rocsparse_direction_T3_S2_llNS_24const_host_device_scalarIT7_EEPKT2_PKS2_PKT4_PKT5_llS5_PT6_ll16rocsparse_order_21rocsparse_index_base_b
	.p2align	8
	.type	_ZN9rocsparseL29bsrmmnt_small_blockdim_kernelILj64ELj64ELj2EllddddEEv20rocsparse_direction_T3_S2_llNS_24const_host_device_scalarIT7_EEPKT2_PKS2_PKT4_PKT5_llS5_PT6_ll16rocsparse_order_21rocsparse_index_base_b,@function
_ZN9rocsparseL29bsrmmnt_small_blockdim_kernelILj64ELj64ELj2EllddddEEv20rocsparse_direction_T3_S2_llNS_24const_host_device_scalarIT7_EEPKT2_PKS2_PKT4_PKT5_llS5_PT6_ll16rocsparse_order_21rocsparse_index_base_b: ; @_ZN9rocsparseL29bsrmmnt_small_blockdim_kernelILj64ELj64ELj2EllddddEEv20rocsparse_direction_T3_S2_llNS_24const_host_device_scalarIT7_EEPKT2_PKS2_PKT4_PKT5_llS5_PT6_ll16rocsparse_order_21rocsparse_index_base_b
; %bb.0:
	s_load_dwordx4 s[24:27], s[4:5], 0x80
	s_load_dwordx2 s[8:9], s[4:5], 0x28
	s_load_dwordx2 s[0:1], s[4:5], 0x60
	s_waitcnt lgkmcnt(0)
	s_bitcmp1_b32 s26, 0
	s_cselect_b64 s[10:11], -1, 0
	s_xor_b64 s[2:3], s[10:11], -1
	s_and_b64 vcc, exec, s[10:11]
	v_pk_mov_b32 v[2:3], s[8:9], s[8:9] op_sel:[0,1]
	s_cbranch_vccnz .LBB44_2
; %bb.1:
	v_pk_mov_b32 v[2:3], s[8:9], s[8:9] op_sel:[0,1]
	flat_load_dwordx2 v[2:3], v[2:3]
.LBB44_2:
	s_andn2_b64 vcc, exec, s[2:3]
	v_pk_mov_b32 v[4:5], s[0:1], s[0:1] op_sel:[0,1]
	s_cbranch_vccnz .LBB44_4
; %bb.3:
	v_pk_mov_b32 v[4:5], s[0:1], s[0:1] op_sel:[0,1]
	flat_load_dwordx2 v[4:5], v[4:5]
.LBB44_4:
	s_waitcnt vmcnt(0) lgkmcnt(0)
	v_cmp_neq_f64_e32 vcc, 0, v[2:3]
	v_cmp_neq_f64_e64 s[0:1], 1.0, v[4:5]
	s_or_b64 s[0:1], vcc, s[0:1]
	s_and_saveexec_b64 s[2:3], s[0:1]
	s_cbranch_execz .LBB44_29
; %bb.5:
	s_load_dword s0, s[4:5], 0x9c
	s_load_dwordx4 s[16:19], s[4:5], 0x8
	v_mov_b32_e32 v7, 0
	s_waitcnt lgkmcnt(0)
	s_and_b32 s0, s0, 0xffff
	s_mul_i32 s6, s6, s0
	v_add_u32_e32 v1, s6, v0
	v_lshrrev_b32_e32 v6, 7, v1
	v_cmp_gt_i64_e32 vcc, s[16:17], v[6:7]
	s_and_b64 exec, exec, vcc
	s_cbranch_execz .LBB44_29
; %bb.6:
	v_cmp_lt_i64_e64 s[0:1], s[18:19], 1
	s_and_b64 vcc, exec, s[0:1]
	s_cbranch_vccnz .LBB44_29
; %bb.7:
	s_load_dwordx8 s[8:15], s[4:5], 0x30
	v_lshlrev_b32_e32 v6, 3, v6
	v_lshrrev_b32_e32 v9, 6, v1
	s_cmp_lg_u32 s24, 1
	s_cselect_b64 s[16:17], -1, 0
	s_waitcnt lgkmcnt(0)
	global_load_dwordx4 v[10:13], v6, s[8:9]
	s_load_dword s2, s[4:5], 0x0
	s_load_dwordx4 s[20:23], s[4:5], 0x68
	s_load_dwordx2 s[6:7], s[4:5], 0x50
	v_mul_u32_u24_e32 v6, 3, v0
	v_lshlrev_b32_e32 v29, 3, v6
	s_waitcnt lgkmcnt(0)
	s_cmp_eq_u32 s2, 0
	v_mad_u64_u32 v[6:7], s[2:3], v9, s22, 0
	v_mov_b32_e32 v8, v7
	v_lshlrev_b32_e32 v16, 3, v9
	v_mad_u64_u32 v[8:9], s[4:5], v9, s23, v[8:9]
	v_mov_b32_e32 v17, s21
	v_add_co_u32_e32 v30, vcc, s20, v16
	v_mov_b32_e32 v7, v8
	v_addc_co_u32_e32 v31, vcc, 0, v17, vcc
	v_lshlrev_b64 v[6:7], 3, v[6:7]
	v_add_co_u32_e32 v32, vcc, s20, v6
	v_addc_co_u32_e32 v33, vcc, v17, v7, vcc
	s_cselect_b64 s[2:3], -1, 0
	v_bfe_u32 v14, v1, 6, 1
	v_mov_b32_e32 v15, 0
	v_mov_b32_e32 v1, 0x600
	v_cndmask_b32_e64 v16, 0, 1, s[2:3]
	s_and_b64 s[2:3], s[2:3], exec
	s_mov_b32 s28, 0
	s_mov_b32 s29, s25
	s_mov_b64 s[8:9], 0
	v_cmp_neq_f64_e64 s[0:1], 0, v[4:5]
	v_lshl_or_b32 v28, v0, 3, v1
	s_cselect_b32 s30, 1, 2
	s_waitcnt vmcnt(0)
	v_subrev_co_u32_e32 v6, vcc, s25, v10
	v_subbrev_co_u32_e32 v7, vcc, 0, v11, vcc
	v_subrev_co_u32_e32 v8, vcc, s25, v12
	v_subbrev_co_u32_e32 v9, vcc, 0, v13, vcc
	v_cmp_lt_i64_e64 s[2:3], v[10:11], v[12:13]
	v_lshlrev_b64 v[10:11], v16, v[14:15]
	s_branch .LBB44_9
.LBB44_8:                               ;   in Loop: Header=BB44_9 Depth=1
	s_or_b64 exec, exec, s[4:5]
	s_add_u32 s8, s8, 64
	s_addc_u32 s9, s9, 0
	v_pk_mov_b32 v[12:13], s[18:19], s[18:19] op_sel:[0,1]
	v_cmp_lt_i64_e32 vcc, s[8:9], v[12:13]
	s_cbranch_vccz .LBB44_29
.LBB44_9:                               ; =>This Loop Header: Depth=1
                                        ;     Child Loop BB44_12 Depth 2
                                        ;       Child Loop BB44_16 Depth 3
	v_or_b32_e64 v13, s9, 0
	v_or_b32_e32 v12, s8, v0
	v_pk_mov_b32 v[14:15], 0, 0
	s_and_saveexec_b64 s[20:21], s[2:3]
	s_cbranch_execz .LBB44_18
; %bb.10:                               ;   in Loop: Header=BB44_9 Depth=1
	v_lshlrev_b64 v[14:15], 3, v[12:13]
	v_mov_b32_e32 v16, s15
	v_add_co_u32_e64 v34, s[4:5], s14, v14
	v_addc_co_u32_e64 v35, s[4:5], v16, v15, s[4:5]
	v_pk_mov_b32 v[16:17], 0, 0
	v_cmp_gt_i64_e32 vcc, s[18:19], v[12:13]
	s_mov_b64 s[24:25], 0
	v_pk_mov_b32 v[18:19], v[6:7], v[6:7] op_sel:[0,1]
	v_pk_mov_b32 v[14:15], v[16:17], v[16:17] op_sel:[0,1]
	s_branch .LBB44_12
.LBB44_11:                              ;   in Loop: Header=BB44_12 Depth=2
	s_or_b64 exec, exec, s[26:27]
	v_add_co_u32_e64 v18, s[4:5], 64, v18
	v_addc_co_u32_e64 v19, s[4:5], 0, v19, s[4:5]
	v_cmp_ge_i64_e64 s[4:5], v[18:19], v[8:9]
	s_or_b64 s[24:25], s[4:5], s[24:25]
	s_andn2_b64 exec, exec, s[24:25]
	s_cbranch_execz .LBB44_17
.LBB44_12:                              ;   Parent Loop BB44_9 Depth=1
                                        ; =>  This Loop Header: Depth=2
                                        ;       Child Loop BB44_16 Depth 3
	v_add_co_u32_e64 v24, s[4:5], v18, v0
	v_addc_co_u32_e64 v25, s[4:5], 0, v19, s[4:5]
	v_cmp_lt_i64_e64 s[4:5], v[24:25], v[8:9]
	v_pk_mov_b32 v[26:27], v[16:17], v[16:17] op_sel:[0,1]
	v_pk_mov_b32 v[20:21], v[16:17], v[16:17] op_sel:[0,1]
	;; [unrolled: 1-line block ×3, first 2 shown]
	s_and_saveexec_b64 s[26:27], s[4:5]
	s_cbranch_execz .LBB44_14
; %bb.13:                               ;   in Loop: Header=BB44_12 Depth=2
	v_lshlrev_b64 v[20:21], 3, v[24:25]
	v_mov_b32_e32 v22, s11
	v_add_co_u32_e64 v20, s[4:5], s10, v20
	v_addc_co_u32_e64 v21, s[4:5], v22, v21, s[4:5]
	global_load_dwordx2 v[26:27], v[20:21], off
	v_lshlrev_b64 v[20:21], 2, v[24:25]
	v_or_b32_e32 v21, v21, v11
	v_or_b32_e32 v20, v20, v10
	v_lshlrev_b64 v[22:23], 3, v[20:21]
	v_mov_b32_e32 v37, s13
	v_add_co_u32_e64 v24, s[4:5], s12, v22
	v_or_b32_e32 v21, 0, v21
	v_or_b32_e32 v20, s30, v20
	v_addc_co_u32_e64 v25, s[4:5], v37, v23, s[4:5]
	v_lshlrev_b64 v[20:21], 3, v[20:21]
	v_add_co_u32_e64 v36, s[4:5], s12, v20
	v_addc_co_u32_e64 v37, s[4:5], v37, v21, s[4:5]
	global_load_dwordx2 v[20:21], v[24:25], off
	global_load_dwordx2 v[22:23], v[36:37], off
	v_mov_b32_e32 v25, s28
	s_waitcnt vmcnt(2)
	v_subrev_co_u32_e64 v24, s[4:5], s29, v26
	v_subb_co_u32_e64 v25, s[4:5], v27, v25, s[4:5]
	v_lshlrev_b64 v[26:27], 1, v[24:25]
.LBB44_14:                              ;   in Loop: Header=BB44_12 Depth=2
	s_or_b64 exec, exec, s[26:27]
	ds_write_b64 v28, v[26:27]
	s_waitcnt vmcnt(0)
	ds_write2_b64 v29, v[20:21], v[22:23] offset1:1
	s_waitcnt lgkmcnt(0)
	; wave barrier
	s_waitcnt lgkmcnt(0)
	s_and_saveexec_b64 s[26:27], vcc
	s_cbranch_execz .LBB44_11
; %bb.15:                               ;   in Loop: Header=BB44_12 Depth=2
	s_mov_b32 s31, 0
	v_mov_b32_e32 v20, 0
.LBB44_16:                              ;   Parent Loop BB44_9 Depth=1
                                        ;     Parent Loop BB44_12 Depth=2
                                        ; =>    This Inner Loop Header: Depth=3
	v_add_u32_e32 v21, s31, v1
	ds_read_b128 v[22:25], v21
	s_lshl_b64 s[34:35], s[6:7], 3
	v_mov_b32_e32 v21, s35
	s_add_i32 s31, s31, 16
	s_cmpk_lg_i32 s31, 0x200
	s_waitcnt lgkmcnt(0)
	v_mul_lo_u32 v26, v23, s6
	v_mul_lo_u32 v27, v22, s7
	v_mad_u64_u32 v[22:23], s[4:5], v22, s6, 0
	v_add3_u32 v23, v23, v27, v26
	v_mul_lo_u32 v36, v25, s6
	v_mul_lo_u32 v37, v24, s7
	v_mad_u64_u32 v[24:25], s[4:5], v24, s6, 0
	v_lshlrev_b64 v[22:23], 3, v[22:23]
	v_add3_u32 v25, v25, v37, v36
	v_add_co_u32_e64 v22, s[4:5], v34, v22
	v_lshlrev_b64 v[24:25], 3, v[24:25]
	v_addc_co_u32_e64 v23, s[4:5], v35, v23, s[4:5]
	v_add_co_u32_e64 v24, s[4:5], v34, v24
	v_addc_co_u32_e64 v25, s[4:5], v35, v25, s[4:5]
	v_add_co_u32_e64 v26, s[4:5], s34, v22
	;; [unrolled: 2-line block ×3, first 2 shown]
	v_addc_co_u32_e64 v37, s[4:5], v25, v21, s[4:5]
	global_load_dwordx2 v[40:41], v[22:23], off
	global_load_dwordx2 v[42:43], v[26:27], off
	;; [unrolled: 1-line block ×4, first 2 shown]
	ds_read_b128 v[22:25], v20
	ds_read2_b64 v[36:39], v20 offset0:3 offset1:4
	v_add_u32_e32 v20, 48, v20
	s_waitcnt vmcnt(3) lgkmcnt(1)
	v_fmac_f64_e32 v[14:15], v[22:23], v[40:41]
	s_waitcnt vmcnt(2)
	v_fmac_f64_e32 v[14:15], v[24:25], v[42:43]
	s_waitcnt vmcnt(1) lgkmcnt(0)
	v_fmac_f64_e32 v[14:15], v[36:37], v[44:45]
	s_waitcnt vmcnt(0)
	v_fmac_f64_e32 v[14:15], v[38:39], v[46:47]
	s_cbranch_scc1 .LBB44_16
	s_branch .LBB44_11
.LBB44_17:                              ;   in Loop: Header=BB44_9 Depth=1
	s_or_b64 exec, exec, s[24:25]
.LBB44_18:                              ;   in Loop: Header=BB44_9 Depth=1
	s_or_b64 exec, exec, s[20:21]
	v_cmp_gt_i64_e32 vcc, s[18:19], v[12:13]
	s_and_saveexec_b64 s[4:5], vcc
	s_cbranch_execz .LBB44_8
; %bb.19:                               ;   in Loop: Header=BB44_9 Depth=1
	s_and_saveexec_b64 s[20:21], s[0:1]
	s_xor_b64 s[20:21], exec, s[20:21]
	s_cbranch_execz .LBB44_24
; %bb.20:                               ;   in Loop: Header=BB44_9 Depth=1
	s_mov_b64 s[24:25], -1
	s_and_b64 vcc, exec, s[16:17]
	s_cbranch_vccz .LBB44_22
; %bb.21:                               ;   in Loop: Header=BB44_9 Depth=1
	v_lshlrev_b64 v[16:17], 3, v[12:13]
	v_add_co_u32_e32 v16, vcc, v32, v16
	v_addc_co_u32_e32 v17, vcc, v33, v17, vcc
	global_load_dwordx2 v[18:19], v[16:17], off
	v_mul_f64 v[20:21], v[2:3], v[14:15]
	s_mov_b64 s[24:25], 0
	s_waitcnt vmcnt(0)
	v_fmac_f64_e32 v[20:21], v[4:5], v[18:19]
	global_store_dwordx2 v[16:17], v[20:21], off
.LBB44_22:                              ;   in Loop: Header=BB44_9 Depth=1
	s_andn2_b64 vcc, exec, s[24:25]
	s_cbranch_vccnz .LBB44_24
; %bb.23:                               ;   in Loop: Header=BB44_9 Depth=1
	v_mul_lo_u32 v16, v13, s22
	v_mul_lo_u32 v17, v12, s23
	v_mad_u64_u32 v[12:13], s[24:25], v12, s22, 0
	v_add3_u32 v13, v13, v17, v16
	v_lshlrev_b64 v[12:13], 3, v[12:13]
	v_add_co_u32_e32 v12, vcc, v30, v12
	v_addc_co_u32_e32 v13, vcc, v31, v13, vcc
	global_load_dwordx2 v[16:17], v[12:13], off
	v_mul_f64 v[14:15], v[2:3], v[14:15]
	s_waitcnt vmcnt(0)
	v_fmac_f64_e32 v[14:15], v[4:5], v[16:17]
	global_store_dwordx2 v[12:13], v[14:15], off
                                        ; implicit-def: $vgpr12_vgpr13
                                        ; implicit-def: $vgpr14_vgpr15
.LBB44_24:                              ;   in Loop: Header=BB44_9 Depth=1
	s_andn2_saveexec_b64 s[20:21], s[20:21]
	s_cbranch_execz .LBB44_8
; %bb.25:                               ;   in Loop: Header=BB44_9 Depth=1
	v_mul_f64 v[14:15], v[2:3], v[14:15]
	s_mov_b64 s[20:21], -1
	s_and_b64 vcc, exec, s[16:17]
	s_cbranch_vccz .LBB44_27
; %bb.26:                               ;   in Loop: Header=BB44_9 Depth=1
	v_lshlrev_b64 v[16:17], 3, v[12:13]
	v_add_co_u32_e32 v16, vcc, v32, v16
	v_addc_co_u32_e32 v17, vcc, v33, v17, vcc
	global_store_dwordx2 v[16:17], v[14:15], off
	s_mov_b64 s[20:21], 0
.LBB44_27:                              ;   in Loop: Header=BB44_9 Depth=1
	s_andn2_b64 vcc, exec, s[20:21]
	s_cbranch_vccnz .LBB44_8
; %bb.28:                               ;   in Loop: Header=BB44_9 Depth=1
	v_mul_lo_u32 v16, v13, s22
	v_mul_lo_u32 v17, v12, s23
	v_mad_u64_u32 v[12:13], s[20:21], v12, s22, 0
	v_add3_u32 v13, v13, v17, v16
	v_lshlrev_b64 v[12:13], 3, v[12:13]
	v_add_co_u32_e32 v12, vcc, v30, v12
	v_addc_co_u32_e32 v13, vcc, v31, v13, vcc
	global_store_dwordx2 v[12:13], v[14:15], off
	s_branch .LBB44_8
.LBB44_29:
	s_endpgm
	.section	.rodata,"a",@progbits
	.p2align	6, 0x0
	.amdhsa_kernel _ZN9rocsparseL29bsrmmnt_small_blockdim_kernelILj64ELj64ELj2EllddddEEv20rocsparse_direction_T3_S2_llNS_24const_host_device_scalarIT7_EEPKT2_PKS2_PKT4_PKT5_llS5_PT6_ll16rocsparse_order_21rocsparse_index_base_b
		.amdhsa_group_segment_fixed_size 2048
		.amdhsa_private_segment_fixed_size 0
		.amdhsa_kernarg_size 400
		.amdhsa_user_sgpr_count 6
		.amdhsa_user_sgpr_private_segment_buffer 1
		.amdhsa_user_sgpr_dispatch_ptr 0
		.amdhsa_user_sgpr_queue_ptr 0
		.amdhsa_user_sgpr_kernarg_segment_ptr 1
		.amdhsa_user_sgpr_dispatch_id 0
		.amdhsa_user_sgpr_flat_scratch_init 0
		.amdhsa_user_sgpr_kernarg_preload_length 0
		.amdhsa_user_sgpr_kernarg_preload_offset 0
		.amdhsa_user_sgpr_private_segment_size 0
		.amdhsa_uses_dynamic_stack 0
		.amdhsa_system_sgpr_private_segment_wavefront_offset 0
		.amdhsa_system_sgpr_workgroup_id_x 1
		.amdhsa_system_sgpr_workgroup_id_y 0
		.amdhsa_system_sgpr_workgroup_id_z 0
		.amdhsa_system_sgpr_workgroup_info 0
		.amdhsa_system_vgpr_workitem_id 0
		.amdhsa_next_free_vgpr 48
		.amdhsa_next_free_sgpr 36
		.amdhsa_accum_offset 48
		.amdhsa_reserve_vcc 1
		.amdhsa_reserve_flat_scratch 0
		.amdhsa_float_round_mode_32 0
		.amdhsa_float_round_mode_16_64 0
		.amdhsa_float_denorm_mode_32 3
		.amdhsa_float_denorm_mode_16_64 3
		.amdhsa_dx10_clamp 1
		.amdhsa_ieee_mode 1
		.amdhsa_fp16_overflow 0
		.amdhsa_tg_split 0
		.amdhsa_exception_fp_ieee_invalid_op 0
		.amdhsa_exception_fp_denorm_src 0
		.amdhsa_exception_fp_ieee_div_zero 0
		.amdhsa_exception_fp_ieee_overflow 0
		.amdhsa_exception_fp_ieee_underflow 0
		.amdhsa_exception_fp_ieee_inexact 0
		.amdhsa_exception_int_div_zero 0
	.end_amdhsa_kernel
	.section	.text._ZN9rocsparseL29bsrmmnt_small_blockdim_kernelILj64ELj64ELj2EllddddEEv20rocsparse_direction_T3_S2_llNS_24const_host_device_scalarIT7_EEPKT2_PKS2_PKT4_PKT5_llS5_PT6_ll16rocsparse_order_21rocsparse_index_base_b,"axG",@progbits,_ZN9rocsparseL29bsrmmnt_small_blockdim_kernelILj64ELj64ELj2EllddddEEv20rocsparse_direction_T3_S2_llNS_24const_host_device_scalarIT7_EEPKT2_PKS2_PKT4_PKT5_llS5_PT6_ll16rocsparse_order_21rocsparse_index_base_b,comdat
.Lfunc_end44:
	.size	_ZN9rocsparseL29bsrmmnt_small_blockdim_kernelILj64ELj64ELj2EllddddEEv20rocsparse_direction_T3_S2_llNS_24const_host_device_scalarIT7_EEPKT2_PKS2_PKT4_PKT5_llS5_PT6_ll16rocsparse_order_21rocsparse_index_base_b, .Lfunc_end44-_ZN9rocsparseL29bsrmmnt_small_blockdim_kernelILj64ELj64ELj2EllddddEEv20rocsparse_direction_T3_S2_llNS_24const_host_device_scalarIT7_EEPKT2_PKS2_PKT4_PKT5_llS5_PT6_ll16rocsparse_order_21rocsparse_index_base_b
                                        ; -- End function
	.section	.AMDGPU.csdata,"",@progbits
; Kernel info:
; codeLenInByte = 1448
; NumSgprs: 40
; NumVgprs: 48
; NumAgprs: 0
; TotalNumVgprs: 48
; ScratchSize: 0
; MemoryBound: 0
; FloatMode: 240
; IeeeMode: 1
; LDSByteSize: 2048 bytes/workgroup (compile time only)
; SGPRBlocks: 4
; VGPRBlocks: 5
; NumSGPRsForWavesPerEU: 40
; NumVGPRsForWavesPerEU: 48
; AccumOffset: 48
; Occupancy: 8
; WaveLimiterHint : 1
; COMPUTE_PGM_RSRC2:SCRATCH_EN: 0
; COMPUTE_PGM_RSRC2:USER_SGPR: 6
; COMPUTE_PGM_RSRC2:TRAP_HANDLER: 0
; COMPUTE_PGM_RSRC2:TGID_X_EN: 1
; COMPUTE_PGM_RSRC2:TGID_Y_EN: 0
; COMPUTE_PGM_RSRC2:TGID_Z_EN: 0
; COMPUTE_PGM_RSRC2:TIDIG_COMP_CNT: 0
; COMPUTE_PGM_RSRC3_GFX90A:ACCUM_OFFSET: 11
; COMPUTE_PGM_RSRC3_GFX90A:TG_SPLIT: 0
	.section	.text._ZN9rocsparseL29bsrmmnt_small_blockdim_kernelILj64ELj8ELj2Eii21rocsparse_complex_numIfES2_S2_S2_EEv20rocsparse_direction_T3_S4_llNS_24const_host_device_scalarIT7_EEPKT2_PKS4_PKT4_PKT5_llS7_PT6_ll16rocsparse_order_21rocsparse_index_base_b,"axG",@progbits,_ZN9rocsparseL29bsrmmnt_small_blockdim_kernelILj64ELj8ELj2Eii21rocsparse_complex_numIfES2_S2_S2_EEv20rocsparse_direction_T3_S4_llNS_24const_host_device_scalarIT7_EEPKT2_PKS4_PKT4_PKT5_llS7_PT6_ll16rocsparse_order_21rocsparse_index_base_b,comdat
	.globl	_ZN9rocsparseL29bsrmmnt_small_blockdim_kernelILj64ELj8ELj2Eii21rocsparse_complex_numIfES2_S2_S2_EEv20rocsparse_direction_T3_S4_llNS_24const_host_device_scalarIT7_EEPKT2_PKS4_PKT4_PKT5_llS7_PT6_ll16rocsparse_order_21rocsparse_index_base_b ; -- Begin function _ZN9rocsparseL29bsrmmnt_small_blockdim_kernelILj64ELj8ELj2Eii21rocsparse_complex_numIfES2_S2_S2_EEv20rocsparse_direction_T3_S4_llNS_24const_host_device_scalarIT7_EEPKT2_PKS4_PKT4_PKT5_llS7_PT6_ll16rocsparse_order_21rocsparse_index_base_b
	.p2align	8
	.type	_ZN9rocsparseL29bsrmmnt_small_blockdim_kernelILj64ELj8ELj2Eii21rocsparse_complex_numIfES2_S2_S2_EEv20rocsparse_direction_T3_S4_llNS_24const_host_device_scalarIT7_EEPKT2_PKS4_PKT4_PKT5_llS7_PT6_ll16rocsparse_order_21rocsparse_index_base_b,@function
_ZN9rocsparseL29bsrmmnt_small_blockdim_kernelILj64ELj8ELj2Eii21rocsparse_complex_numIfES2_S2_S2_EEv20rocsparse_direction_T3_S4_llNS_24const_host_device_scalarIT7_EEPKT2_PKS4_PKT4_PKT5_llS7_PT6_ll16rocsparse_order_21rocsparse_index_base_b: ; @_ZN9rocsparseL29bsrmmnt_small_blockdim_kernelILj64ELj8ELj2Eii21rocsparse_complex_numIfES2_S2_S2_EEv20rocsparse_direction_T3_S4_llNS_24const_host_device_scalarIT7_EEPKT2_PKS4_PKT4_PKT5_llS7_PT6_ll16rocsparse_order_21rocsparse_index_base_b
; %bb.0:
	s_load_dwordx4 s[16:19], s[4:5], 0x78
	s_load_dwordx2 s[8:9], s[4:5], 0x20
	s_load_dwordx2 s[2:3], s[4:5], 0x58
	s_waitcnt lgkmcnt(0)
	s_bitcmp1_b32 s18, 0
	s_cselect_b64 s[0:1], -1, 0
	s_xor_b64 s[10:11], s[0:1], -1
	s_and_b64 vcc, exec, s[0:1]
	v_mov_b32_e32 v2, s8
	s_cbranch_vccnz .LBB45_2
; %bb.1:
	v_pk_mov_b32 v[2:3], s[8:9], s[8:9] op_sel:[0,1]
	flat_load_dword v2, v[2:3]
.LBB45_2:
	v_cndmask_b32_e64 v1, 0, 1, s[10:11]
	v_cmp_ne_u32_e64 s[0:1], 1, v1
	s_andn2_b64 vcc, exec, s[10:11]
	v_mov_b32_e32 v3, s9
	s_cbranch_vccz .LBB45_34
; %bb.3:
	s_and_b64 vcc, exec, s[0:1]
	v_mov_b32_e32 v4, s2
	s_cbranch_vccz .LBB45_35
.LBB45_4:
	s_and_b64 vcc, exec, s[0:1]
	v_mov_b32_e32 v5, s3
	s_cbranch_vccnz .LBB45_6
.LBB45_5:
	v_pk_mov_b32 v[6:7], s[2:3], s[2:3] op_sel:[0,1]
	flat_load_dword v5, v[6:7] offset:4
.LBB45_6:
	s_waitcnt vmcnt(0) lgkmcnt(0)
	v_and_b32_e32 v1, 0x7fffffff, v2
	v_cmp_eq_u32_e32 vcc, 0, v1
	v_cmp_eq_f32_e64 s[0:1], 0, v3
	s_and_b64 s[8:9], vcc, s[0:1]
	s_mov_b64 s[0:1], -1
	s_and_saveexec_b64 s[2:3], s[8:9]
; %bb.7:
	v_and_b32_e32 v1, 0x7fffffff, v5
	v_cmp_neq_f32_e32 vcc, 1.0, v4
	v_cmp_ne_u32_e64 s[0:1], 0, v1
	s_or_b64 s[0:1], vcc, s[0:1]
	s_orn2_b64 s[0:1], s[0:1], exec
; %bb.8:
	s_or_b64 exec, exec, s[2:3]
	s_and_saveexec_b64 s[2:3], s[0:1]
	s_cbranch_execz .LBB45_33
; %bb.9:
	s_load_dword s0, s[4:5], 0x94
	s_load_dwordx4 s[20:23], s[4:5], 0x0
	s_waitcnt lgkmcnt(0)
	s_and_b32 s0, s0, 0xffff
	s_mul_i32 s6, s6, s0
	v_add_u32_e32 v1, s6, v0
	v_lshrrev_b32_e32 v6, 4, v1
	v_cmp_gt_i32_e32 vcc, s21, v6
	s_and_b64 exec, exec, vcc
	s_cbranch_execz .LBB45_33
; %bb.10:
	s_cmp_lt_i32 s22, 1
	s_cbranch_scc1 .LBB45_33
; %bb.11:
	s_load_dwordx8 s[8:15], s[4:5], 0x28
	v_lshlrev_b32_e32 v6, 2, v6
	v_and_b32_e32 v13, 0x7fffffff, v4
	v_and_b32_e32 v20, 7, v0
	v_lshrrev_b32_e32 v8, 3, v0
	s_waitcnt lgkmcnt(0)
	global_load_dwordx2 v[10:11], v6, s[8:9]
	s_load_dwordx4 s[24:27], s[4:5], 0x60
	s_load_dwordx2 s[6:7], s[4:5], 0x48
	v_mov_b32_e32 v12, 0x600
	v_cmp_neq_f32_e32 vcc, 0, v5
	v_cmp_ne_u32_e64 s[0:1], 0, v13
	v_lshl_or_b32 v21, v8, 5, v12
	v_mul_u32_u24_e32 v12, 3, v20
	s_or_b64 s[8:9], s[0:1], vcc
	v_lshrrev_b32_e32 v14, 3, v1
	s_movk_i32 s2, 0xc0
	v_lshlrev_b32_e32 v12, 3, v12
	s_cmp_lg_u32 s16, 1
	v_mad_u32_u24 v24, v8, s2, v12
	s_cselect_b64 s[18:19], -1, 0
	s_cmp_eq_u32 s20, 0
	s_waitcnt lgkmcnt(0)
	v_mad_u64_u32 v[12:13], s[0:1], v14, s26, 0
	s_cselect_b64 s[0:1], -1, 0
	v_bfe_u32 v15, v1, 3, 1
	v_mov_b32_e32 v9, 0
	v_mul_u32_u24_e32 v22, 0xc0, v8
	v_cndmask_b32_e64 v18, 0, 1, s[0:1]
	v_mov_b32_e32 v8, v13
	v_and_b32_e32 v16, -8, v1
	s_and_b64 s[0:1], s[0:1], exec
	v_lshlrev_b32_e32 v27, v18, v15
	v_mad_u64_u32 v[14:15], s[0:1], v14, s27, v[8:9]
	v_mov_b32_e32 v17, s25
	v_add_co_u32_e32 v25, vcc, s24, v16
	v_mov_b32_e32 v13, v14
	v_addc_co_u32_e32 v26, vcc, 0, v17, vcc
	v_lshlrev_b64 v[12:13], 3, v[12:13]
	v_add_co_u32_e32 v28, vcc, s24, v12
	s_mov_b32 s4, 0
	v_xor_b32_e32 v0, 0x80000000, v3
	v_xor_b32_e32 v6, 0x80000000, v5
	v_mov_b32_e32 v1, v2
	v_mov_b32_e32 v7, v4
	v_lshl_or_b32 v23, v20, 2, v21
	s_cselect_b32 s16, 1, 2
	v_addc_co_u32_e32 v29, vcc, v17, v13, vcc
	s_mov_b32 s23, 0
	s_waitcnt vmcnt(0)
	v_subrev_u32_e32 v30, s17, v10
	v_subrev_u32_e32 v31, s17, v11
	v_cmp_lt_i32_e64 s[0:1], v10, v11
	s_branch .LBB45_13
.LBB45_12:                              ;   in Loop: Header=BB45_13 Depth=1
	s_or_b64 exec, exec, s[2:3]
	s_add_i32 s23, s23, 8
	s_cmp_lt_i32 s23, s22
	s_cbranch_scc0 .LBB45_33
.LBB45_13:                              ; =>This Loop Header: Depth=1
                                        ;     Child Loop BB45_16 Depth 2
                                        ;       Child Loop BB45_20 Depth 3
	v_or_b32_e32 v10, s23, v20
	s_mov_b32 s5, s4
	v_pk_mov_b32 v[12:13], s[4:5], s[4:5] op_sel:[0,1]
	v_ashrrev_i32_e32 v11, 31, v10
	s_and_saveexec_b64 s[20:21], s[0:1]
	s_cbranch_execz .LBB45_22
; %bb.14:                               ;   in Loop: Header=BB45_13 Depth=1
	v_lshlrev_b64 v[12:13], 3, v[10:11]
	v_mov_b32_e32 v8, s15
	v_add_co_u32_e64 v32, s[2:3], s14, v12
	v_cmp_gt_i32_e32 vcc, s22, v10
	v_addc_co_u32_e64 v33, s[2:3], v8, v13, s[2:3]
	s_mov_b64 s[24:25], 0
	v_pk_mov_b32 v[12:13], s[4:5], s[4:5] op_sel:[0,1]
	v_mov_b32_e32 v34, v30
	s_branch .LBB45_16
.LBB45_15:                              ;   in Loop: Header=BB45_16 Depth=2
	s_or_b64 exec, exec, s[28:29]
	v_add_u32_e32 v34, 8, v34
	v_cmp_ge_i32_e64 s[2:3], v34, v31
	s_or_b64 s[24:25], s[2:3], s[24:25]
	s_andn2_b64 exec, exec, s[24:25]
	s_cbranch_execz .LBB45_21
.LBB45_16:                              ;   Parent Loop BB45_13 Depth=1
                                        ; =>  This Loop Header: Depth=2
                                        ;       Child Loop BB45_20 Depth 3
	v_add_u32_e32 v18, v34, v20
	v_cmp_lt_i32_e64 s[2:3], v18, v31
	v_mov_b32_e32 v8, 0
	v_mov_b32_e32 v14, 0
	;; [unrolled: 1-line block ×5, first 2 shown]
	s_and_saveexec_b64 s[28:29], s[2:3]
	s_cbranch_execz .LBB45_18
; %bb.17:                               ;   in Loop: Header=BB45_16 Depth=2
	v_ashrrev_i32_e32 v19, 31, v18
	v_lshlrev_b64 v[14:15], 2, v[18:19]
	v_mov_b32_e32 v8, s11
	v_add_co_u32_e64 v14, s[2:3], s10, v14
	v_addc_co_u32_e64 v15, s[2:3], v8, v15, s[2:3]
	v_lshl_or_b32 v8, v18, 2, v27
	global_load_dword v35, v[14:15], off
	v_lshlrev_b64 v[14:15], 3, v[8:9]
	v_mov_b32_e32 v16, s13
	v_add_co_u32_e64 v18, s[2:3], s12, v14
	v_or_b32_e32 v8, s16, v8
	v_addc_co_u32_e64 v19, s[2:3], v16, v15, s[2:3]
	v_lshlrev_b64 v[14:15], 3, v[8:9]
	v_add_co_u32_e64 v36, s[2:3], s12, v14
	v_addc_co_u32_e64 v37, s[2:3], v16, v15, s[2:3]
	global_load_dwordx2 v[14:15], v[18:19], off
	global_load_dwordx2 v[16:17], v[36:37], off
	s_waitcnt vmcnt(2)
	v_subrev_u32_e32 v8, s17, v35
	v_lshlrev_b32_e32 v8, 1, v8
.LBB45_18:                              ;   in Loop: Header=BB45_16 Depth=2
	s_or_b64 exec, exec, s[28:29]
	ds_write_b32 v23, v8
	s_waitcnt vmcnt(0)
	ds_write2_b64 v24, v[14:15], v[16:17] offset1:1
	s_waitcnt lgkmcnt(0)
	; wave barrier
	s_waitcnt lgkmcnt(0)
	s_and_saveexec_b64 s[28:29], vcc
	s_cbranch_execz .LBB45_15
; %bb.19:                               ;   in Loop: Header=BB45_16 Depth=2
	s_mov_b32 s5, 0
	v_mov_b32_e32 v8, v22
.LBB45_20:                              ;   Parent Loop BB45_13 Depth=1
                                        ;     Parent Loop BB45_16 Depth=2
                                        ; =>    This Inner Loop Header: Depth=3
	v_add_u32_e32 v14, s5, v21
	ds_read_b64 v[14:15], v14
	s_add_i32 s5, s5, 8
	s_cmp_lg_u32 s5, 32
	s_waitcnt lgkmcnt(0)
	v_ashrrev_i32_e32 v35, 31, v14
	v_mul_lo_u32 v38, v14, s7
	v_mad_u64_u32 v[16:17], s[2:3], v14, s6, 0
	v_mul_lo_u32 v35, v35, s6
	v_add_u32_e32 v14, 1, v14
	v_ashrrev_i32_e32 v36, 31, v15
	v_add_u32_e32 v37, 1, v15
	v_add3_u32 v17, v17, v38, v35
	v_mul_lo_u32 v39, v15, s7
	v_mad_u64_u32 v[18:19], s[2:3], v15, s6, 0
	v_ashrrev_i32_e32 v40, 31, v14
	v_mul_lo_u32 v41, v14, s7
	v_mad_u64_u32 v[14:15], s[2:3], v14, s6, 0
	v_mul_lo_u32 v42, v36, s6
	v_ashrrev_i32_e32 v43, 31, v37
	v_mul_lo_u32 v44, v37, s7
	v_mad_u64_u32 v[36:37], s[2:3], v37, s6, 0
	v_lshlrev_b64 v[16:17], 3, v[16:17]
	v_add3_u32 v19, v19, v39, v42
	v_add_co_u32_e64 v16, s[2:3], v32, v16
	v_mul_lo_u32 v35, v40, s6
	v_lshlrev_b64 v[18:19], 3, v[18:19]
	v_addc_co_u32_e64 v17, s[2:3], v33, v17, s[2:3]
	v_add3_u32 v15, v15, v41, v35
	v_add_co_u32_e64 v18, s[2:3], v32, v18
	v_lshlrev_b64 v[14:15], 3, v[14:15]
	v_addc_co_u32_e64 v19, s[2:3], v33, v19, s[2:3]
	global_load_dwordx2 v[40:41], v[16:17], off
	v_mul_lo_u32 v38, v43, s6
	v_add_co_u32_e64 v14, s[2:3], v32, v14
	v_add3_u32 v37, v37, v44, v38
	v_addc_co_u32_e64 v15, s[2:3], v33, v15, s[2:3]
	v_lshlrev_b64 v[36:37], 3, v[36:37]
	global_load_dwordx2 v[42:43], v[14:15], off
	global_load_dwordx2 v[44:45], v[18:19], off
	v_add_co_u32_e64 v16, s[2:3], v32, v36
	v_addc_co_u32_e64 v17, s[2:3], v33, v37, s[2:3]
	global_load_dwordx2 v[18:19], v[16:17], off
	ds_read_b128 v[14:17], v8
	ds_read2_b64 v[36:39], v8 offset0:3 offset1:4
	v_add_u32_e32 v8, 48, v8
	s_waitcnt lgkmcnt(1)
	v_xor_b32_e32 v46, 0x80000000, v17
	v_mov_b32_e32 v47, v16
	s_waitcnt lgkmcnt(0)
	v_xor_b32_e32 v48, 0x80000000, v39
	v_mov_b32_e32 v49, v38
	s_waitcnt vmcnt(3)
	v_pk_fma_f32 v[12:13], v[14:15], v[40:41], v[12:13] op_sel_hi:[1,0,1]
	v_pk_fma_f32 v[12:13], v[14:15], v[40:41], v[12:13] op_sel:[1,1,0] op_sel_hi:[0,1,1] neg_lo:[1,0,0]
	s_waitcnt vmcnt(2)
	v_pk_fma_f32 v[12:13], v[16:17], v[42:43], v[12:13] op_sel_hi:[1,0,1]
	v_pk_fma_f32 v[12:13], v[46:47], v[42:43], v[12:13] op_sel:[0,1,0]
	s_waitcnt vmcnt(1)
	v_pk_fma_f32 v[12:13], v[36:37], v[44:45], v[12:13] op_sel_hi:[1,0,1]
	v_pk_fma_f32 v[12:13], v[36:37], v[44:45], v[12:13] op_sel:[1,1,0] op_sel_hi:[0,1,1] neg_lo:[1,0,0]
	s_waitcnt vmcnt(0)
	v_pk_fma_f32 v[12:13], v[38:39], v[18:19], v[12:13] op_sel_hi:[1,0,1]
	v_pk_fma_f32 v[12:13], v[48:49], v[18:19], v[12:13] op_sel:[0,1,0]
	s_cbranch_scc1 .LBB45_20
	s_branch .LBB45_15
.LBB45_21:                              ;   in Loop: Header=BB45_13 Depth=1
	s_or_b64 exec, exec, s[24:25]
.LBB45_22:                              ;   in Loop: Header=BB45_13 Depth=1
	s_or_b64 exec, exec, s[20:21]
	v_cmp_gt_i32_e32 vcc, s22, v10
	s_and_saveexec_b64 s[2:3], vcc
	s_cbranch_execz .LBB45_12
; %bb.23:                               ;   in Loop: Header=BB45_13 Depth=1
	s_and_saveexec_b64 s[20:21], s[8:9]
	s_xor_b64 s[20:21], exec, s[20:21]
	s_cbranch_execz .LBB45_28
; %bb.24:                               ;   in Loop: Header=BB45_13 Depth=1
	s_mov_b64 s[24:25], -1
	s_and_b64 vcc, exec, s[18:19]
	s_cbranch_vccz .LBB45_26
; %bb.25:                               ;   in Loop: Header=BB45_13 Depth=1
	v_lshlrev_b64 v[14:15], 3, v[10:11]
	v_add_co_u32_e32 v14, vcc, v28, v14
	v_addc_co_u32_e32 v15, vcc, v29, v15, vcc
	global_load_dwordx2 v[16:17], v[14:15], off
	v_pk_mul_f32 v[18:19], v[12:13], v[0:1] op_sel:[1,0]
	v_pk_fma_f32 v[18:19], v[2:3], v[12:13], v[18:19] op_sel_hi:[1,0,1]
	s_mov_b64 s[24:25], 0
	s_waitcnt vmcnt(0)
	v_pk_fma_f32 v[18:19], v[4:5], v[16:17], v[18:19] op_sel_hi:[1,0,1]
	v_pk_fma_f32 v[16:17], v[6:7], v[16:17], v[18:19] op_sel:[0,1,0]
	global_store_dwordx2 v[14:15], v[16:17], off
.LBB45_26:                              ;   in Loop: Header=BB45_13 Depth=1
	s_andn2_b64 vcc, exec, s[24:25]
	s_cbranch_vccnz .LBB45_28
; %bb.27:                               ;   in Loop: Header=BB45_13 Depth=1
	v_mul_lo_u32 v8, v11, s26
	v_mul_lo_u32 v14, v10, s27
	v_mad_u64_u32 v[10:11], s[24:25], v10, s26, 0
	v_add3_u32 v11, v11, v14, v8
	v_lshlrev_b64 v[10:11], 3, v[10:11]
	v_add_co_u32_e32 v10, vcc, v25, v10
	v_addc_co_u32_e32 v11, vcc, v26, v11, vcc
	global_load_dwordx2 v[14:15], v[10:11], off
	v_pk_mul_f32 v[16:17], v[12:13], v[0:1] op_sel:[1,0]
	v_pk_fma_f32 v[12:13], v[2:3], v[12:13], v[16:17] op_sel_hi:[1,0,1]
	s_waitcnt vmcnt(0)
	v_pk_fma_f32 v[12:13], v[4:5], v[14:15], v[12:13] op_sel_hi:[1,0,1]
	v_pk_fma_f32 v[12:13], v[6:7], v[14:15], v[12:13] op_sel:[0,1,0]
	global_store_dwordx2 v[10:11], v[12:13], off
                                        ; implicit-def: $vgpr12_vgpr13
                                        ; implicit-def: $vgpr10
.LBB45_28:                              ;   in Loop: Header=BB45_13 Depth=1
	s_andn2_saveexec_b64 s[20:21], s[20:21]
	s_cbranch_execz .LBB45_12
; %bb.29:                               ;   in Loop: Header=BB45_13 Depth=1
	v_pk_mul_f32 v[14:15], v[12:13], v[0:1] op_sel:[1,0]
	v_pk_fma_f32 v[12:13], v[2:3], v[12:13], v[14:15] op_sel_hi:[1,0,1]
	s_mov_b64 s[20:21], -1
	s_and_b64 vcc, exec, s[18:19]
	s_cbranch_vccz .LBB45_31
; %bb.30:                               ;   in Loop: Header=BB45_13 Depth=1
	v_lshlrev_b64 v[14:15], 3, v[10:11]
	v_add_co_u32_e32 v14, vcc, v28, v14
	v_addc_co_u32_e32 v15, vcc, v29, v15, vcc
	global_store_dwordx2 v[14:15], v[12:13], off
	s_mov_b64 s[20:21], 0
.LBB45_31:                              ;   in Loop: Header=BB45_13 Depth=1
	s_andn2_b64 vcc, exec, s[20:21]
	s_cbranch_vccnz .LBB45_12
; %bb.32:                               ;   in Loop: Header=BB45_13 Depth=1
	v_mul_lo_u32 v8, v11, s26
	v_mul_lo_u32 v14, v10, s27
	v_mad_u64_u32 v[10:11], s[20:21], v10, s26, 0
	v_add3_u32 v11, v11, v14, v8
	v_lshlrev_b64 v[10:11], 3, v[10:11]
	v_add_co_u32_e32 v10, vcc, v25, v10
	v_addc_co_u32_e32 v11, vcc, v26, v11, vcc
	global_store_dwordx2 v[10:11], v[12:13], off
	s_branch .LBB45_12
.LBB45_33:
	s_endpgm
.LBB45_34:
	v_pk_mov_b32 v[4:5], s[8:9], s[8:9] op_sel:[0,1]
	flat_load_dword v3, v[4:5] offset:4
	s_and_b64 vcc, exec, s[0:1]
	v_mov_b32_e32 v4, s2
	s_cbranch_vccnz .LBB45_4
.LBB45_35:
	v_pk_mov_b32 v[4:5], s[2:3], s[2:3] op_sel:[0,1]
	flat_load_dword v4, v[4:5]
	s_and_b64 vcc, exec, s[0:1]
	v_mov_b32_e32 v5, s3
	s_cbranch_vccz .LBB45_5
	s_branch .LBB45_6
	.section	.rodata,"a",@progbits
	.p2align	6, 0x0
	.amdhsa_kernel _ZN9rocsparseL29bsrmmnt_small_blockdim_kernelILj64ELj8ELj2Eii21rocsparse_complex_numIfES2_S2_S2_EEv20rocsparse_direction_T3_S4_llNS_24const_host_device_scalarIT7_EEPKT2_PKS4_PKT4_PKT5_llS7_PT6_ll16rocsparse_order_21rocsparse_index_base_b
		.amdhsa_group_segment_fixed_size 1792
		.amdhsa_private_segment_fixed_size 0
		.amdhsa_kernarg_size 392
		.amdhsa_user_sgpr_count 6
		.amdhsa_user_sgpr_private_segment_buffer 1
		.amdhsa_user_sgpr_dispatch_ptr 0
		.amdhsa_user_sgpr_queue_ptr 0
		.amdhsa_user_sgpr_kernarg_segment_ptr 1
		.amdhsa_user_sgpr_dispatch_id 0
		.amdhsa_user_sgpr_flat_scratch_init 0
		.amdhsa_user_sgpr_kernarg_preload_length 0
		.amdhsa_user_sgpr_kernarg_preload_offset 0
		.amdhsa_user_sgpr_private_segment_size 0
		.amdhsa_uses_dynamic_stack 0
		.amdhsa_system_sgpr_private_segment_wavefront_offset 0
		.amdhsa_system_sgpr_workgroup_id_x 1
		.amdhsa_system_sgpr_workgroup_id_y 0
		.amdhsa_system_sgpr_workgroup_id_z 0
		.amdhsa_system_sgpr_workgroup_info 0
		.amdhsa_system_vgpr_workitem_id 0
		.amdhsa_next_free_vgpr 50
		.amdhsa_next_free_sgpr 30
		.amdhsa_accum_offset 52
		.amdhsa_reserve_vcc 1
		.amdhsa_reserve_flat_scratch 0
		.amdhsa_float_round_mode_32 0
		.amdhsa_float_round_mode_16_64 0
		.amdhsa_float_denorm_mode_32 3
		.amdhsa_float_denorm_mode_16_64 3
		.amdhsa_dx10_clamp 1
		.amdhsa_ieee_mode 1
		.amdhsa_fp16_overflow 0
		.amdhsa_tg_split 0
		.amdhsa_exception_fp_ieee_invalid_op 0
		.amdhsa_exception_fp_denorm_src 0
		.amdhsa_exception_fp_ieee_div_zero 0
		.amdhsa_exception_fp_ieee_overflow 0
		.amdhsa_exception_fp_ieee_underflow 0
		.amdhsa_exception_fp_ieee_inexact 0
		.amdhsa_exception_int_div_zero 0
	.end_amdhsa_kernel
	.section	.text._ZN9rocsparseL29bsrmmnt_small_blockdim_kernelILj64ELj8ELj2Eii21rocsparse_complex_numIfES2_S2_S2_EEv20rocsparse_direction_T3_S4_llNS_24const_host_device_scalarIT7_EEPKT2_PKS4_PKT4_PKT5_llS7_PT6_ll16rocsparse_order_21rocsparse_index_base_b,"axG",@progbits,_ZN9rocsparseL29bsrmmnt_small_blockdim_kernelILj64ELj8ELj2Eii21rocsparse_complex_numIfES2_S2_S2_EEv20rocsparse_direction_T3_S4_llNS_24const_host_device_scalarIT7_EEPKT2_PKS4_PKT4_PKT5_llS7_PT6_ll16rocsparse_order_21rocsparse_index_base_b,comdat
.Lfunc_end45:
	.size	_ZN9rocsparseL29bsrmmnt_small_blockdim_kernelILj64ELj8ELj2Eii21rocsparse_complex_numIfES2_S2_S2_EEv20rocsparse_direction_T3_S4_llNS_24const_host_device_scalarIT7_EEPKT2_PKS4_PKT4_PKT5_llS7_PT6_ll16rocsparse_order_21rocsparse_index_base_b, .Lfunc_end45-_ZN9rocsparseL29bsrmmnt_small_blockdim_kernelILj64ELj8ELj2Eii21rocsparse_complex_numIfES2_S2_S2_EEv20rocsparse_direction_T3_S4_llNS_24const_host_device_scalarIT7_EEPKT2_PKS4_PKT4_PKT5_llS7_PT6_ll16rocsparse_order_21rocsparse_index_base_b
                                        ; -- End function
	.section	.AMDGPU.csdata,"",@progbits
; Kernel info:
; codeLenInByte = 1772
; NumSgprs: 34
; NumVgprs: 50
; NumAgprs: 0
; TotalNumVgprs: 50
; ScratchSize: 0
; MemoryBound: 0
; FloatMode: 240
; IeeeMode: 1
; LDSByteSize: 1792 bytes/workgroup (compile time only)
; SGPRBlocks: 4
; VGPRBlocks: 6
; NumSGPRsForWavesPerEU: 34
; NumVGPRsForWavesPerEU: 50
; AccumOffset: 52
; Occupancy: 8
; WaveLimiterHint : 1
; COMPUTE_PGM_RSRC2:SCRATCH_EN: 0
; COMPUTE_PGM_RSRC2:USER_SGPR: 6
; COMPUTE_PGM_RSRC2:TRAP_HANDLER: 0
; COMPUTE_PGM_RSRC2:TGID_X_EN: 1
; COMPUTE_PGM_RSRC2:TGID_Y_EN: 0
; COMPUTE_PGM_RSRC2:TGID_Z_EN: 0
; COMPUTE_PGM_RSRC2:TIDIG_COMP_CNT: 0
; COMPUTE_PGM_RSRC3_GFX90A:ACCUM_OFFSET: 12
; COMPUTE_PGM_RSRC3_GFX90A:TG_SPLIT: 0
	.section	.text._ZN9rocsparseL29bsrmmnt_small_blockdim_kernelILj64ELj16ELj2Eii21rocsparse_complex_numIfES2_S2_S2_EEv20rocsparse_direction_T3_S4_llNS_24const_host_device_scalarIT7_EEPKT2_PKS4_PKT4_PKT5_llS7_PT6_ll16rocsparse_order_21rocsparse_index_base_b,"axG",@progbits,_ZN9rocsparseL29bsrmmnt_small_blockdim_kernelILj64ELj16ELj2Eii21rocsparse_complex_numIfES2_S2_S2_EEv20rocsparse_direction_T3_S4_llNS_24const_host_device_scalarIT7_EEPKT2_PKS4_PKT4_PKT5_llS7_PT6_ll16rocsparse_order_21rocsparse_index_base_b,comdat
	.globl	_ZN9rocsparseL29bsrmmnt_small_blockdim_kernelILj64ELj16ELj2Eii21rocsparse_complex_numIfES2_S2_S2_EEv20rocsparse_direction_T3_S4_llNS_24const_host_device_scalarIT7_EEPKT2_PKS4_PKT4_PKT5_llS7_PT6_ll16rocsparse_order_21rocsparse_index_base_b ; -- Begin function _ZN9rocsparseL29bsrmmnt_small_blockdim_kernelILj64ELj16ELj2Eii21rocsparse_complex_numIfES2_S2_S2_EEv20rocsparse_direction_T3_S4_llNS_24const_host_device_scalarIT7_EEPKT2_PKS4_PKT4_PKT5_llS7_PT6_ll16rocsparse_order_21rocsparse_index_base_b
	.p2align	8
	.type	_ZN9rocsparseL29bsrmmnt_small_blockdim_kernelILj64ELj16ELj2Eii21rocsparse_complex_numIfES2_S2_S2_EEv20rocsparse_direction_T3_S4_llNS_24const_host_device_scalarIT7_EEPKT2_PKS4_PKT4_PKT5_llS7_PT6_ll16rocsparse_order_21rocsparse_index_base_b,@function
_ZN9rocsparseL29bsrmmnt_small_blockdim_kernelILj64ELj16ELj2Eii21rocsparse_complex_numIfES2_S2_S2_EEv20rocsparse_direction_T3_S4_llNS_24const_host_device_scalarIT7_EEPKT2_PKS4_PKT4_PKT5_llS7_PT6_ll16rocsparse_order_21rocsparse_index_base_b: ; @_ZN9rocsparseL29bsrmmnt_small_blockdim_kernelILj64ELj16ELj2Eii21rocsparse_complex_numIfES2_S2_S2_EEv20rocsparse_direction_T3_S4_llNS_24const_host_device_scalarIT7_EEPKT2_PKS4_PKT4_PKT5_llS7_PT6_ll16rocsparse_order_21rocsparse_index_base_b
; %bb.0:
	s_load_dwordx4 s[16:19], s[4:5], 0x78
	s_load_dwordx2 s[8:9], s[4:5], 0x20
	s_load_dwordx2 s[2:3], s[4:5], 0x58
	s_waitcnt lgkmcnt(0)
	s_bitcmp1_b32 s18, 0
	s_cselect_b64 s[0:1], -1, 0
	s_xor_b64 s[10:11], s[0:1], -1
	s_and_b64 vcc, exec, s[0:1]
	v_mov_b32_e32 v2, s8
	s_cbranch_vccnz .LBB46_2
; %bb.1:
	v_pk_mov_b32 v[2:3], s[8:9], s[8:9] op_sel:[0,1]
	flat_load_dword v2, v[2:3]
.LBB46_2:
	v_cndmask_b32_e64 v1, 0, 1, s[10:11]
	v_cmp_ne_u32_e64 s[0:1], 1, v1
	s_andn2_b64 vcc, exec, s[10:11]
	v_mov_b32_e32 v3, s9
	s_cbranch_vccz .LBB46_34
; %bb.3:
	s_and_b64 vcc, exec, s[0:1]
	v_mov_b32_e32 v4, s2
	s_cbranch_vccz .LBB46_35
.LBB46_4:
	s_and_b64 vcc, exec, s[0:1]
	v_mov_b32_e32 v5, s3
	s_cbranch_vccnz .LBB46_6
.LBB46_5:
	v_pk_mov_b32 v[6:7], s[2:3], s[2:3] op_sel:[0,1]
	flat_load_dword v5, v[6:7] offset:4
.LBB46_6:
	s_waitcnt vmcnt(0) lgkmcnt(0)
	v_and_b32_e32 v1, 0x7fffffff, v2
	v_cmp_eq_u32_e32 vcc, 0, v1
	v_cmp_eq_f32_e64 s[0:1], 0, v3
	s_and_b64 s[8:9], vcc, s[0:1]
	s_mov_b64 s[0:1], -1
	s_and_saveexec_b64 s[2:3], s[8:9]
; %bb.7:
	v_and_b32_e32 v1, 0x7fffffff, v5
	v_cmp_neq_f32_e32 vcc, 1.0, v4
	v_cmp_ne_u32_e64 s[0:1], 0, v1
	s_or_b64 s[0:1], vcc, s[0:1]
	s_orn2_b64 s[0:1], s[0:1], exec
; %bb.8:
	s_or_b64 exec, exec, s[2:3]
	s_and_saveexec_b64 s[2:3], s[0:1]
	s_cbranch_execz .LBB46_33
; %bb.9:
	s_load_dword s0, s[4:5], 0x94
	s_load_dwordx4 s[20:23], s[4:5], 0x0
	s_waitcnt lgkmcnt(0)
	s_and_b32 s0, s0, 0xffff
	s_mul_i32 s6, s6, s0
	v_add_u32_e32 v1, s6, v0
	v_lshrrev_b32_e32 v6, 5, v1
	v_cmp_gt_i32_e32 vcc, s21, v6
	s_and_b64 exec, exec, vcc
	s_cbranch_execz .LBB46_33
; %bb.10:
	s_cmp_lt_i32 s22, 1
	s_cbranch_scc1 .LBB46_33
; %bb.11:
	s_load_dwordx8 s[8:15], s[4:5], 0x28
	v_lshlrev_b32_e32 v6, 2, v6
	v_and_b32_e32 v13, 0x7fffffff, v4
	v_and_b32_e32 v20, 15, v0
	v_lshrrev_b32_e32 v8, 4, v0
	s_waitcnt lgkmcnt(0)
	global_load_dwordx2 v[10:11], v6, s[8:9]
	s_load_dwordx4 s[24:27], s[4:5], 0x60
	s_load_dwordx2 s[6:7], s[4:5], 0x48
	v_mov_b32_e32 v12, 0x600
	v_cmp_neq_f32_e32 vcc, 0, v5
	v_cmp_ne_u32_e64 s[0:1], 0, v13
	v_lshl_or_b32 v21, v8, 6, v12
	v_mul_u32_u24_e32 v12, 3, v20
	s_or_b64 s[8:9], s[0:1], vcc
	v_lshrrev_b32_e32 v14, 4, v1
	s_movk_i32 s2, 0x180
	v_lshlrev_b32_e32 v12, 3, v12
	s_cmp_lg_u32 s16, 1
	v_mad_u32_u24 v24, v8, s2, v12
	s_cselect_b64 s[18:19], -1, 0
	s_cmp_eq_u32 s20, 0
	s_waitcnt lgkmcnt(0)
	v_mad_u64_u32 v[12:13], s[0:1], v14, s26, 0
	s_cselect_b64 s[0:1], -1, 0
	v_bfe_u32 v15, v1, 4, 1
	v_mov_b32_e32 v9, 0
	v_mul_u32_u24_e32 v22, 0x180, v8
	v_cndmask_b32_e64 v18, 0, 1, s[0:1]
	v_mov_b32_e32 v8, v13
	v_lshlrev_b32_e32 v16, 3, v14
	s_and_b64 s[0:1], s[0:1], exec
	v_lshlrev_b32_e32 v27, v18, v15
	v_mad_u64_u32 v[14:15], s[0:1], v14, s27, v[8:9]
	v_mov_b32_e32 v17, s25
	v_add_co_u32_e32 v25, vcc, s24, v16
	v_mov_b32_e32 v13, v14
	v_addc_co_u32_e32 v26, vcc, 0, v17, vcc
	v_lshlrev_b64 v[12:13], 3, v[12:13]
	v_add_co_u32_e32 v28, vcc, s24, v12
	s_mov_b32 s4, 0
	v_xor_b32_e32 v0, 0x80000000, v3
	v_xor_b32_e32 v6, 0x80000000, v5
	v_mov_b32_e32 v1, v2
	v_mov_b32_e32 v7, v4
	v_lshl_or_b32 v23, v20, 2, v21
	s_cselect_b32 s16, 1, 2
	v_addc_co_u32_e32 v29, vcc, v17, v13, vcc
	s_mov_b32 s23, 0
	s_waitcnt vmcnt(0)
	v_subrev_u32_e32 v30, s17, v10
	v_subrev_u32_e32 v31, s17, v11
	v_cmp_lt_i32_e64 s[0:1], v10, v11
	s_branch .LBB46_13
.LBB46_12:                              ;   in Loop: Header=BB46_13 Depth=1
	s_or_b64 exec, exec, s[2:3]
	s_add_i32 s23, s23, 16
	s_cmp_lt_i32 s23, s22
	s_cbranch_scc0 .LBB46_33
.LBB46_13:                              ; =>This Loop Header: Depth=1
                                        ;     Child Loop BB46_16 Depth 2
                                        ;       Child Loop BB46_20 Depth 3
	v_or_b32_e32 v10, s23, v20
	s_mov_b32 s5, s4
	v_pk_mov_b32 v[12:13], s[4:5], s[4:5] op_sel:[0,1]
	v_ashrrev_i32_e32 v11, 31, v10
	s_and_saveexec_b64 s[20:21], s[0:1]
	s_cbranch_execz .LBB46_22
; %bb.14:                               ;   in Loop: Header=BB46_13 Depth=1
	v_lshlrev_b64 v[12:13], 3, v[10:11]
	v_mov_b32_e32 v8, s15
	v_add_co_u32_e64 v32, s[2:3], s14, v12
	v_cmp_gt_i32_e32 vcc, s22, v10
	v_addc_co_u32_e64 v33, s[2:3], v8, v13, s[2:3]
	s_mov_b64 s[24:25], 0
	v_pk_mov_b32 v[12:13], s[4:5], s[4:5] op_sel:[0,1]
	v_mov_b32_e32 v34, v30
	s_branch .LBB46_16
.LBB46_15:                              ;   in Loop: Header=BB46_16 Depth=2
	s_or_b64 exec, exec, s[28:29]
	v_add_u32_e32 v34, 16, v34
	v_cmp_ge_i32_e64 s[2:3], v34, v31
	s_or_b64 s[24:25], s[2:3], s[24:25]
	s_andn2_b64 exec, exec, s[24:25]
	s_cbranch_execz .LBB46_21
.LBB46_16:                              ;   Parent Loop BB46_13 Depth=1
                                        ; =>  This Loop Header: Depth=2
                                        ;       Child Loop BB46_20 Depth 3
	v_add_u32_e32 v18, v34, v20
	v_cmp_lt_i32_e64 s[2:3], v18, v31
	v_mov_b32_e32 v8, 0
	v_mov_b32_e32 v14, 0
	;; [unrolled: 1-line block ×5, first 2 shown]
	s_and_saveexec_b64 s[28:29], s[2:3]
	s_cbranch_execz .LBB46_18
; %bb.17:                               ;   in Loop: Header=BB46_16 Depth=2
	v_ashrrev_i32_e32 v19, 31, v18
	v_lshlrev_b64 v[14:15], 2, v[18:19]
	v_mov_b32_e32 v8, s11
	v_add_co_u32_e64 v14, s[2:3], s10, v14
	v_addc_co_u32_e64 v15, s[2:3], v8, v15, s[2:3]
	v_lshl_or_b32 v8, v18, 2, v27
	global_load_dword v35, v[14:15], off
	v_lshlrev_b64 v[14:15], 3, v[8:9]
	v_mov_b32_e32 v16, s13
	v_add_co_u32_e64 v18, s[2:3], s12, v14
	v_or_b32_e32 v8, s16, v8
	v_addc_co_u32_e64 v19, s[2:3], v16, v15, s[2:3]
	v_lshlrev_b64 v[14:15], 3, v[8:9]
	v_add_co_u32_e64 v36, s[2:3], s12, v14
	v_addc_co_u32_e64 v37, s[2:3], v16, v15, s[2:3]
	global_load_dwordx2 v[14:15], v[18:19], off
	global_load_dwordx2 v[16:17], v[36:37], off
	s_waitcnt vmcnt(2)
	v_subrev_u32_e32 v8, s17, v35
	v_lshlrev_b32_e32 v8, 1, v8
.LBB46_18:                              ;   in Loop: Header=BB46_16 Depth=2
	s_or_b64 exec, exec, s[28:29]
	ds_write_b32 v23, v8
	s_waitcnt vmcnt(0)
	ds_write2_b64 v24, v[14:15], v[16:17] offset1:1
	s_waitcnt lgkmcnt(0)
	; wave barrier
	s_waitcnt lgkmcnt(0)
	s_and_saveexec_b64 s[28:29], vcc
	s_cbranch_execz .LBB46_15
; %bb.19:                               ;   in Loop: Header=BB46_16 Depth=2
	s_mov_b32 s5, 0
	v_mov_b32_e32 v8, v22
.LBB46_20:                              ;   Parent Loop BB46_13 Depth=1
                                        ;     Parent Loop BB46_16 Depth=2
                                        ; =>    This Inner Loop Header: Depth=3
	v_add_u32_e32 v14, s5, v21
	ds_read_b64 v[14:15], v14
	s_add_i32 s5, s5, 8
	s_cmp_lg_u32 s5, 64
	s_waitcnt lgkmcnt(0)
	v_ashrrev_i32_e32 v35, 31, v14
	v_mul_lo_u32 v38, v14, s7
	v_mad_u64_u32 v[16:17], s[2:3], v14, s6, 0
	v_mul_lo_u32 v35, v35, s6
	v_add_u32_e32 v14, 1, v14
	v_ashrrev_i32_e32 v36, 31, v15
	v_add_u32_e32 v37, 1, v15
	v_add3_u32 v17, v17, v38, v35
	v_mul_lo_u32 v39, v15, s7
	v_mad_u64_u32 v[18:19], s[2:3], v15, s6, 0
	v_ashrrev_i32_e32 v40, 31, v14
	v_mul_lo_u32 v41, v14, s7
	v_mad_u64_u32 v[14:15], s[2:3], v14, s6, 0
	v_mul_lo_u32 v42, v36, s6
	v_ashrrev_i32_e32 v43, 31, v37
	v_mul_lo_u32 v44, v37, s7
	v_mad_u64_u32 v[36:37], s[2:3], v37, s6, 0
	v_lshlrev_b64 v[16:17], 3, v[16:17]
	v_add3_u32 v19, v19, v39, v42
	v_add_co_u32_e64 v16, s[2:3], v32, v16
	v_mul_lo_u32 v35, v40, s6
	v_lshlrev_b64 v[18:19], 3, v[18:19]
	v_addc_co_u32_e64 v17, s[2:3], v33, v17, s[2:3]
	v_add3_u32 v15, v15, v41, v35
	v_add_co_u32_e64 v18, s[2:3], v32, v18
	v_lshlrev_b64 v[14:15], 3, v[14:15]
	v_addc_co_u32_e64 v19, s[2:3], v33, v19, s[2:3]
	global_load_dwordx2 v[40:41], v[16:17], off
	v_mul_lo_u32 v38, v43, s6
	v_add_co_u32_e64 v14, s[2:3], v32, v14
	v_add3_u32 v37, v37, v44, v38
	v_addc_co_u32_e64 v15, s[2:3], v33, v15, s[2:3]
	v_lshlrev_b64 v[36:37], 3, v[36:37]
	global_load_dwordx2 v[42:43], v[14:15], off
	global_load_dwordx2 v[44:45], v[18:19], off
	v_add_co_u32_e64 v16, s[2:3], v32, v36
	v_addc_co_u32_e64 v17, s[2:3], v33, v37, s[2:3]
	global_load_dwordx2 v[18:19], v[16:17], off
	ds_read_b128 v[14:17], v8
	ds_read2_b64 v[36:39], v8 offset0:3 offset1:4
	v_add_u32_e32 v8, 48, v8
	s_waitcnt lgkmcnt(1)
	v_xor_b32_e32 v46, 0x80000000, v17
	v_mov_b32_e32 v47, v16
	s_waitcnt lgkmcnt(0)
	v_xor_b32_e32 v48, 0x80000000, v39
	v_mov_b32_e32 v49, v38
	s_waitcnt vmcnt(3)
	v_pk_fma_f32 v[12:13], v[14:15], v[40:41], v[12:13] op_sel_hi:[1,0,1]
	v_pk_fma_f32 v[12:13], v[14:15], v[40:41], v[12:13] op_sel:[1,1,0] op_sel_hi:[0,1,1] neg_lo:[1,0,0]
	s_waitcnt vmcnt(2)
	v_pk_fma_f32 v[12:13], v[16:17], v[42:43], v[12:13] op_sel_hi:[1,0,1]
	v_pk_fma_f32 v[12:13], v[46:47], v[42:43], v[12:13] op_sel:[0,1,0]
	s_waitcnt vmcnt(1)
	v_pk_fma_f32 v[12:13], v[36:37], v[44:45], v[12:13] op_sel_hi:[1,0,1]
	v_pk_fma_f32 v[12:13], v[36:37], v[44:45], v[12:13] op_sel:[1,1,0] op_sel_hi:[0,1,1] neg_lo:[1,0,0]
	s_waitcnt vmcnt(0)
	v_pk_fma_f32 v[12:13], v[38:39], v[18:19], v[12:13] op_sel_hi:[1,0,1]
	v_pk_fma_f32 v[12:13], v[48:49], v[18:19], v[12:13] op_sel:[0,1,0]
	s_cbranch_scc1 .LBB46_20
	s_branch .LBB46_15
.LBB46_21:                              ;   in Loop: Header=BB46_13 Depth=1
	s_or_b64 exec, exec, s[24:25]
.LBB46_22:                              ;   in Loop: Header=BB46_13 Depth=1
	s_or_b64 exec, exec, s[20:21]
	v_cmp_gt_i32_e32 vcc, s22, v10
	s_and_saveexec_b64 s[2:3], vcc
	s_cbranch_execz .LBB46_12
; %bb.23:                               ;   in Loop: Header=BB46_13 Depth=1
	s_and_saveexec_b64 s[20:21], s[8:9]
	s_xor_b64 s[20:21], exec, s[20:21]
	s_cbranch_execz .LBB46_28
; %bb.24:                               ;   in Loop: Header=BB46_13 Depth=1
	s_mov_b64 s[24:25], -1
	s_and_b64 vcc, exec, s[18:19]
	s_cbranch_vccz .LBB46_26
; %bb.25:                               ;   in Loop: Header=BB46_13 Depth=1
	v_lshlrev_b64 v[14:15], 3, v[10:11]
	v_add_co_u32_e32 v14, vcc, v28, v14
	v_addc_co_u32_e32 v15, vcc, v29, v15, vcc
	global_load_dwordx2 v[16:17], v[14:15], off
	v_pk_mul_f32 v[18:19], v[12:13], v[0:1] op_sel:[1,0]
	v_pk_fma_f32 v[18:19], v[2:3], v[12:13], v[18:19] op_sel_hi:[1,0,1]
	s_mov_b64 s[24:25], 0
	s_waitcnt vmcnt(0)
	v_pk_fma_f32 v[18:19], v[4:5], v[16:17], v[18:19] op_sel_hi:[1,0,1]
	v_pk_fma_f32 v[16:17], v[6:7], v[16:17], v[18:19] op_sel:[0,1,0]
	global_store_dwordx2 v[14:15], v[16:17], off
.LBB46_26:                              ;   in Loop: Header=BB46_13 Depth=1
	s_andn2_b64 vcc, exec, s[24:25]
	s_cbranch_vccnz .LBB46_28
; %bb.27:                               ;   in Loop: Header=BB46_13 Depth=1
	v_mul_lo_u32 v8, v11, s26
	v_mul_lo_u32 v14, v10, s27
	v_mad_u64_u32 v[10:11], s[24:25], v10, s26, 0
	v_add3_u32 v11, v11, v14, v8
	v_lshlrev_b64 v[10:11], 3, v[10:11]
	v_add_co_u32_e32 v10, vcc, v25, v10
	v_addc_co_u32_e32 v11, vcc, v26, v11, vcc
	global_load_dwordx2 v[14:15], v[10:11], off
	v_pk_mul_f32 v[16:17], v[12:13], v[0:1] op_sel:[1,0]
	v_pk_fma_f32 v[12:13], v[2:3], v[12:13], v[16:17] op_sel_hi:[1,0,1]
	s_waitcnt vmcnt(0)
	v_pk_fma_f32 v[12:13], v[4:5], v[14:15], v[12:13] op_sel_hi:[1,0,1]
	v_pk_fma_f32 v[12:13], v[6:7], v[14:15], v[12:13] op_sel:[0,1,0]
	global_store_dwordx2 v[10:11], v[12:13], off
                                        ; implicit-def: $vgpr12_vgpr13
                                        ; implicit-def: $vgpr10
.LBB46_28:                              ;   in Loop: Header=BB46_13 Depth=1
	s_andn2_saveexec_b64 s[20:21], s[20:21]
	s_cbranch_execz .LBB46_12
; %bb.29:                               ;   in Loop: Header=BB46_13 Depth=1
	v_pk_mul_f32 v[14:15], v[12:13], v[0:1] op_sel:[1,0]
	v_pk_fma_f32 v[12:13], v[2:3], v[12:13], v[14:15] op_sel_hi:[1,0,1]
	s_mov_b64 s[20:21], -1
	s_and_b64 vcc, exec, s[18:19]
	s_cbranch_vccz .LBB46_31
; %bb.30:                               ;   in Loop: Header=BB46_13 Depth=1
	v_lshlrev_b64 v[14:15], 3, v[10:11]
	v_add_co_u32_e32 v14, vcc, v28, v14
	v_addc_co_u32_e32 v15, vcc, v29, v15, vcc
	global_store_dwordx2 v[14:15], v[12:13], off
	s_mov_b64 s[20:21], 0
.LBB46_31:                              ;   in Loop: Header=BB46_13 Depth=1
	s_andn2_b64 vcc, exec, s[20:21]
	s_cbranch_vccnz .LBB46_12
; %bb.32:                               ;   in Loop: Header=BB46_13 Depth=1
	v_mul_lo_u32 v8, v11, s26
	v_mul_lo_u32 v14, v10, s27
	v_mad_u64_u32 v[10:11], s[20:21], v10, s26, 0
	v_add3_u32 v11, v11, v14, v8
	v_lshlrev_b64 v[10:11], 3, v[10:11]
	v_add_co_u32_e32 v10, vcc, v25, v10
	v_addc_co_u32_e32 v11, vcc, v26, v11, vcc
	global_store_dwordx2 v[10:11], v[12:13], off
	s_branch .LBB46_12
.LBB46_33:
	s_endpgm
.LBB46_34:
	v_pk_mov_b32 v[4:5], s[8:9], s[8:9] op_sel:[0,1]
	flat_load_dword v3, v[4:5] offset:4
	s_and_b64 vcc, exec, s[0:1]
	v_mov_b32_e32 v4, s2
	s_cbranch_vccnz .LBB46_4
.LBB46_35:
	v_pk_mov_b32 v[4:5], s[2:3], s[2:3] op_sel:[0,1]
	flat_load_dword v4, v[4:5]
	s_and_b64 vcc, exec, s[0:1]
	v_mov_b32_e32 v5, s3
	s_cbranch_vccz .LBB46_5
	s_branch .LBB46_6
	.section	.rodata,"a",@progbits
	.p2align	6, 0x0
	.amdhsa_kernel _ZN9rocsparseL29bsrmmnt_small_blockdim_kernelILj64ELj16ELj2Eii21rocsparse_complex_numIfES2_S2_S2_EEv20rocsparse_direction_T3_S4_llNS_24const_host_device_scalarIT7_EEPKT2_PKS4_PKT4_PKT5_llS7_PT6_ll16rocsparse_order_21rocsparse_index_base_b
		.amdhsa_group_segment_fixed_size 1792
		.amdhsa_private_segment_fixed_size 0
		.amdhsa_kernarg_size 392
		.amdhsa_user_sgpr_count 6
		.amdhsa_user_sgpr_private_segment_buffer 1
		.amdhsa_user_sgpr_dispatch_ptr 0
		.amdhsa_user_sgpr_queue_ptr 0
		.amdhsa_user_sgpr_kernarg_segment_ptr 1
		.amdhsa_user_sgpr_dispatch_id 0
		.amdhsa_user_sgpr_flat_scratch_init 0
		.amdhsa_user_sgpr_kernarg_preload_length 0
		.amdhsa_user_sgpr_kernarg_preload_offset 0
		.amdhsa_user_sgpr_private_segment_size 0
		.amdhsa_uses_dynamic_stack 0
		.amdhsa_system_sgpr_private_segment_wavefront_offset 0
		.amdhsa_system_sgpr_workgroup_id_x 1
		.amdhsa_system_sgpr_workgroup_id_y 0
		.amdhsa_system_sgpr_workgroup_id_z 0
		.amdhsa_system_sgpr_workgroup_info 0
		.amdhsa_system_vgpr_workitem_id 0
		.amdhsa_next_free_vgpr 50
		.amdhsa_next_free_sgpr 30
		.amdhsa_accum_offset 52
		.amdhsa_reserve_vcc 1
		.amdhsa_reserve_flat_scratch 0
		.amdhsa_float_round_mode_32 0
		.amdhsa_float_round_mode_16_64 0
		.amdhsa_float_denorm_mode_32 3
		.amdhsa_float_denorm_mode_16_64 3
		.amdhsa_dx10_clamp 1
		.amdhsa_ieee_mode 1
		.amdhsa_fp16_overflow 0
		.amdhsa_tg_split 0
		.amdhsa_exception_fp_ieee_invalid_op 0
		.amdhsa_exception_fp_denorm_src 0
		.amdhsa_exception_fp_ieee_div_zero 0
		.amdhsa_exception_fp_ieee_overflow 0
		.amdhsa_exception_fp_ieee_underflow 0
		.amdhsa_exception_fp_ieee_inexact 0
		.amdhsa_exception_int_div_zero 0
	.end_amdhsa_kernel
	.section	.text._ZN9rocsparseL29bsrmmnt_small_blockdim_kernelILj64ELj16ELj2Eii21rocsparse_complex_numIfES2_S2_S2_EEv20rocsparse_direction_T3_S4_llNS_24const_host_device_scalarIT7_EEPKT2_PKS4_PKT4_PKT5_llS7_PT6_ll16rocsparse_order_21rocsparse_index_base_b,"axG",@progbits,_ZN9rocsparseL29bsrmmnt_small_blockdim_kernelILj64ELj16ELj2Eii21rocsparse_complex_numIfES2_S2_S2_EEv20rocsparse_direction_T3_S4_llNS_24const_host_device_scalarIT7_EEPKT2_PKS4_PKT4_PKT5_llS7_PT6_ll16rocsparse_order_21rocsparse_index_base_b,comdat
.Lfunc_end46:
	.size	_ZN9rocsparseL29bsrmmnt_small_blockdim_kernelILj64ELj16ELj2Eii21rocsparse_complex_numIfES2_S2_S2_EEv20rocsparse_direction_T3_S4_llNS_24const_host_device_scalarIT7_EEPKT2_PKS4_PKT4_PKT5_llS7_PT6_ll16rocsparse_order_21rocsparse_index_base_b, .Lfunc_end46-_ZN9rocsparseL29bsrmmnt_small_blockdim_kernelILj64ELj16ELj2Eii21rocsparse_complex_numIfES2_S2_S2_EEv20rocsparse_direction_T3_S4_llNS_24const_host_device_scalarIT7_EEPKT2_PKS4_PKT4_PKT5_llS7_PT6_ll16rocsparse_order_21rocsparse_index_base_b
                                        ; -- End function
	.section	.AMDGPU.csdata,"",@progbits
; Kernel info:
; codeLenInByte = 1772
; NumSgprs: 34
; NumVgprs: 50
; NumAgprs: 0
; TotalNumVgprs: 50
; ScratchSize: 0
; MemoryBound: 0
; FloatMode: 240
; IeeeMode: 1
; LDSByteSize: 1792 bytes/workgroup (compile time only)
; SGPRBlocks: 4
; VGPRBlocks: 6
; NumSGPRsForWavesPerEU: 34
; NumVGPRsForWavesPerEU: 50
; AccumOffset: 52
; Occupancy: 8
; WaveLimiterHint : 1
; COMPUTE_PGM_RSRC2:SCRATCH_EN: 0
; COMPUTE_PGM_RSRC2:USER_SGPR: 6
; COMPUTE_PGM_RSRC2:TRAP_HANDLER: 0
; COMPUTE_PGM_RSRC2:TGID_X_EN: 1
; COMPUTE_PGM_RSRC2:TGID_Y_EN: 0
; COMPUTE_PGM_RSRC2:TGID_Z_EN: 0
; COMPUTE_PGM_RSRC2:TIDIG_COMP_CNT: 0
; COMPUTE_PGM_RSRC3_GFX90A:ACCUM_OFFSET: 12
; COMPUTE_PGM_RSRC3_GFX90A:TG_SPLIT: 0
	.section	.text._ZN9rocsparseL29bsrmmnt_small_blockdim_kernelILj64ELj32ELj2Eii21rocsparse_complex_numIfES2_S2_S2_EEv20rocsparse_direction_T3_S4_llNS_24const_host_device_scalarIT7_EEPKT2_PKS4_PKT4_PKT5_llS7_PT6_ll16rocsparse_order_21rocsparse_index_base_b,"axG",@progbits,_ZN9rocsparseL29bsrmmnt_small_blockdim_kernelILj64ELj32ELj2Eii21rocsparse_complex_numIfES2_S2_S2_EEv20rocsparse_direction_T3_S4_llNS_24const_host_device_scalarIT7_EEPKT2_PKS4_PKT4_PKT5_llS7_PT6_ll16rocsparse_order_21rocsparse_index_base_b,comdat
	.globl	_ZN9rocsparseL29bsrmmnt_small_blockdim_kernelILj64ELj32ELj2Eii21rocsparse_complex_numIfES2_S2_S2_EEv20rocsparse_direction_T3_S4_llNS_24const_host_device_scalarIT7_EEPKT2_PKS4_PKT4_PKT5_llS7_PT6_ll16rocsparse_order_21rocsparse_index_base_b ; -- Begin function _ZN9rocsparseL29bsrmmnt_small_blockdim_kernelILj64ELj32ELj2Eii21rocsparse_complex_numIfES2_S2_S2_EEv20rocsparse_direction_T3_S4_llNS_24const_host_device_scalarIT7_EEPKT2_PKS4_PKT4_PKT5_llS7_PT6_ll16rocsparse_order_21rocsparse_index_base_b
	.p2align	8
	.type	_ZN9rocsparseL29bsrmmnt_small_blockdim_kernelILj64ELj32ELj2Eii21rocsparse_complex_numIfES2_S2_S2_EEv20rocsparse_direction_T3_S4_llNS_24const_host_device_scalarIT7_EEPKT2_PKS4_PKT4_PKT5_llS7_PT6_ll16rocsparse_order_21rocsparse_index_base_b,@function
_ZN9rocsparseL29bsrmmnt_small_blockdim_kernelILj64ELj32ELj2Eii21rocsparse_complex_numIfES2_S2_S2_EEv20rocsparse_direction_T3_S4_llNS_24const_host_device_scalarIT7_EEPKT2_PKS4_PKT4_PKT5_llS7_PT6_ll16rocsparse_order_21rocsparse_index_base_b: ; @_ZN9rocsparseL29bsrmmnt_small_blockdim_kernelILj64ELj32ELj2Eii21rocsparse_complex_numIfES2_S2_S2_EEv20rocsparse_direction_T3_S4_llNS_24const_host_device_scalarIT7_EEPKT2_PKS4_PKT4_PKT5_llS7_PT6_ll16rocsparse_order_21rocsparse_index_base_b
; %bb.0:
	s_load_dwordx4 s[16:19], s[4:5], 0x78
	s_load_dwordx2 s[8:9], s[4:5], 0x20
	s_load_dwordx2 s[2:3], s[4:5], 0x58
	s_waitcnt lgkmcnt(0)
	s_bitcmp1_b32 s18, 0
	s_cselect_b64 s[0:1], -1, 0
	s_xor_b64 s[10:11], s[0:1], -1
	s_and_b64 vcc, exec, s[0:1]
	v_mov_b32_e32 v2, s8
	s_cbranch_vccnz .LBB47_2
; %bb.1:
	v_pk_mov_b32 v[2:3], s[8:9], s[8:9] op_sel:[0,1]
	flat_load_dword v2, v[2:3]
.LBB47_2:
	v_cndmask_b32_e64 v1, 0, 1, s[10:11]
	v_cmp_ne_u32_e64 s[0:1], 1, v1
	s_andn2_b64 vcc, exec, s[10:11]
	v_mov_b32_e32 v3, s9
	s_cbranch_vccz .LBB47_34
; %bb.3:
	s_and_b64 vcc, exec, s[0:1]
	v_mov_b32_e32 v4, s2
	s_cbranch_vccz .LBB47_35
.LBB47_4:
	s_and_b64 vcc, exec, s[0:1]
	v_mov_b32_e32 v5, s3
	s_cbranch_vccnz .LBB47_6
.LBB47_5:
	v_pk_mov_b32 v[6:7], s[2:3], s[2:3] op_sel:[0,1]
	flat_load_dword v5, v[6:7] offset:4
.LBB47_6:
	s_waitcnt vmcnt(0) lgkmcnt(0)
	v_and_b32_e32 v1, 0x7fffffff, v2
	v_cmp_eq_u32_e32 vcc, 0, v1
	v_cmp_eq_f32_e64 s[0:1], 0, v3
	s_and_b64 s[8:9], vcc, s[0:1]
	s_mov_b64 s[0:1], -1
	s_and_saveexec_b64 s[2:3], s[8:9]
; %bb.7:
	v_and_b32_e32 v1, 0x7fffffff, v5
	v_cmp_neq_f32_e32 vcc, 1.0, v4
	v_cmp_ne_u32_e64 s[0:1], 0, v1
	s_or_b64 s[0:1], vcc, s[0:1]
	s_orn2_b64 s[0:1], s[0:1], exec
; %bb.8:
	s_or_b64 exec, exec, s[2:3]
	s_and_saveexec_b64 s[2:3], s[0:1]
	s_cbranch_execz .LBB47_33
; %bb.9:
	s_load_dword s0, s[4:5], 0x94
	s_load_dwordx4 s[20:23], s[4:5], 0x0
	s_waitcnt lgkmcnt(0)
	s_and_b32 s0, s0, 0xffff
	s_mul_i32 s6, s6, s0
	v_add_u32_e32 v1, s6, v0
	v_lshrrev_b32_e32 v6, 6, v1
	v_cmp_gt_i32_e32 vcc, s21, v6
	s_and_b64 exec, exec, vcc
	s_cbranch_execz .LBB47_33
; %bb.10:
	s_cmp_lt_i32 s22, 1
	s_cbranch_scc1 .LBB47_33
; %bb.11:
	s_load_dwordx8 s[8:15], s[4:5], 0x28
	v_lshlrev_b32_e32 v6, 2, v6
	v_and_b32_e32 v13, 0x7fffffff, v4
	v_and_b32_e32 v20, 31, v0
	v_lshrrev_b32_e32 v8, 5, v0
	s_waitcnt lgkmcnt(0)
	global_load_dwordx2 v[10:11], v6, s[8:9]
	s_load_dwordx4 s[24:27], s[4:5], 0x60
	s_load_dwordx2 s[6:7], s[4:5], 0x48
	v_mov_b32_e32 v12, 0x600
	v_cmp_neq_f32_e32 vcc, 0, v5
	v_cmp_ne_u32_e64 s[0:1], 0, v13
	v_lshl_or_b32 v21, v8, 7, v12
	v_mul_u32_u24_e32 v12, 3, v20
	s_or_b64 s[8:9], s[0:1], vcc
	v_lshrrev_b32_e32 v14, 5, v1
	s_movk_i32 s2, 0x300
	v_lshlrev_b32_e32 v12, 3, v12
	s_cmp_lg_u32 s16, 1
	v_mad_u32_u24 v24, v8, s2, v12
	s_cselect_b64 s[18:19], -1, 0
	s_cmp_eq_u32 s20, 0
	s_waitcnt lgkmcnt(0)
	v_mad_u64_u32 v[12:13], s[0:1], v14, s26, 0
	s_cselect_b64 s[0:1], -1, 0
	v_bfe_u32 v15, v1, 5, 1
	v_mov_b32_e32 v9, 0
	v_mul_u32_u24_e32 v22, 0x300, v8
	v_cndmask_b32_e64 v18, 0, 1, s[0:1]
	v_mov_b32_e32 v8, v13
	v_lshlrev_b32_e32 v16, 3, v14
	s_and_b64 s[0:1], s[0:1], exec
	v_lshlrev_b32_e32 v27, v18, v15
	v_mad_u64_u32 v[14:15], s[0:1], v14, s27, v[8:9]
	v_mov_b32_e32 v17, s25
	v_add_co_u32_e32 v25, vcc, s24, v16
	v_mov_b32_e32 v13, v14
	v_addc_co_u32_e32 v26, vcc, 0, v17, vcc
	v_lshlrev_b64 v[12:13], 3, v[12:13]
	v_add_co_u32_e32 v28, vcc, s24, v12
	s_mov_b32 s4, 0
	v_xor_b32_e32 v0, 0x80000000, v3
	v_xor_b32_e32 v6, 0x80000000, v5
	v_mov_b32_e32 v1, v2
	v_mov_b32_e32 v7, v4
	v_lshl_or_b32 v23, v20, 2, v21
	s_cselect_b32 s16, 1, 2
	v_addc_co_u32_e32 v29, vcc, v17, v13, vcc
	s_mov_b32 s23, 0
	s_waitcnt vmcnt(0)
	v_subrev_u32_e32 v30, s17, v10
	v_subrev_u32_e32 v31, s17, v11
	v_cmp_lt_i32_e64 s[0:1], v10, v11
	s_branch .LBB47_13
.LBB47_12:                              ;   in Loop: Header=BB47_13 Depth=1
	s_or_b64 exec, exec, s[2:3]
	s_add_i32 s23, s23, 32
	s_cmp_lt_i32 s23, s22
	s_cbranch_scc0 .LBB47_33
.LBB47_13:                              ; =>This Loop Header: Depth=1
                                        ;     Child Loop BB47_16 Depth 2
                                        ;       Child Loop BB47_20 Depth 3
	v_or_b32_e32 v10, s23, v20
	s_mov_b32 s5, s4
	v_pk_mov_b32 v[12:13], s[4:5], s[4:5] op_sel:[0,1]
	v_ashrrev_i32_e32 v11, 31, v10
	s_and_saveexec_b64 s[20:21], s[0:1]
	s_cbranch_execz .LBB47_22
; %bb.14:                               ;   in Loop: Header=BB47_13 Depth=1
	v_lshlrev_b64 v[12:13], 3, v[10:11]
	v_mov_b32_e32 v8, s15
	v_add_co_u32_e64 v32, s[2:3], s14, v12
	v_cmp_gt_i32_e32 vcc, s22, v10
	v_addc_co_u32_e64 v33, s[2:3], v8, v13, s[2:3]
	s_mov_b64 s[24:25], 0
	v_pk_mov_b32 v[12:13], s[4:5], s[4:5] op_sel:[0,1]
	v_mov_b32_e32 v34, v30
	s_branch .LBB47_16
.LBB47_15:                              ;   in Loop: Header=BB47_16 Depth=2
	s_or_b64 exec, exec, s[28:29]
	v_add_u32_e32 v34, 32, v34
	v_cmp_ge_i32_e64 s[2:3], v34, v31
	s_or_b64 s[24:25], s[2:3], s[24:25]
	s_andn2_b64 exec, exec, s[24:25]
	s_cbranch_execz .LBB47_21
.LBB47_16:                              ;   Parent Loop BB47_13 Depth=1
                                        ; =>  This Loop Header: Depth=2
                                        ;       Child Loop BB47_20 Depth 3
	v_add_u32_e32 v18, v34, v20
	v_cmp_lt_i32_e64 s[2:3], v18, v31
	v_mov_b32_e32 v8, 0
	v_mov_b32_e32 v14, 0
	;; [unrolled: 1-line block ×5, first 2 shown]
	s_and_saveexec_b64 s[28:29], s[2:3]
	s_cbranch_execz .LBB47_18
; %bb.17:                               ;   in Loop: Header=BB47_16 Depth=2
	v_ashrrev_i32_e32 v19, 31, v18
	v_lshlrev_b64 v[14:15], 2, v[18:19]
	v_mov_b32_e32 v8, s11
	v_add_co_u32_e64 v14, s[2:3], s10, v14
	v_addc_co_u32_e64 v15, s[2:3], v8, v15, s[2:3]
	v_lshl_or_b32 v8, v18, 2, v27
	global_load_dword v35, v[14:15], off
	v_lshlrev_b64 v[14:15], 3, v[8:9]
	v_mov_b32_e32 v16, s13
	v_add_co_u32_e64 v18, s[2:3], s12, v14
	v_or_b32_e32 v8, s16, v8
	v_addc_co_u32_e64 v19, s[2:3], v16, v15, s[2:3]
	v_lshlrev_b64 v[14:15], 3, v[8:9]
	v_add_co_u32_e64 v36, s[2:3], s12, v14
	v_addc_co_u32_e64 v37, s[2:3], v16, v15, s[2:3]
	global_load_dwordx2 v[14:15], v[18:19], off
	global_load_dwordx2 v[16:17], v[36:37], off
	s_waitcnt vmcnt(2)
	v_subrev_u32_e32 v8, s17, v35
	v_lshlrev_b32_e32 v8, 1, v8
.LBB47_18:                              ;   in Loop: Header=BB47_16 Depth=2
	s_or_b64 exec, exec, s[28:29]
	ds_write_b32 v23, v8
	s_waitcnt vmcnt(0)
	ds_write2_b64 v24, v[14:15], v[16:17] offset1:1
	s_waitcnt lgkmcnt(0)
	; wave barrier
	s_waitcnt lgkmcnt(0)
	s_and_saveexec_b64 s[28:29], vcc
	s_cbranch_execz .LBB47_15
; %bb.19:                               ;   in Loop: Header=BB47_16 Depth=2
	s_mov_b32 s5, 0
	v_mov_b32_e32 v8, v22
.LBB47_20:                              ;   Parent Loop BB47_13 Depth=1
                                        ;     Parent Loop BB47_16 Depth=2
                                        ; =>    This Inner Loop Header: Depth=3
	v_add_u32_e32 v14, s5, v21
	ds_read_b64 v[14:15], v14
	s_add_i32 s5, s5, 8
	s_cmpk_lg_i32 s5, 0x80
	s_waitcnt lgkmcnt(0)
	v_ashrrev_i32_e32 v35, 31, v14
	v_mul_lo_u32 v38, v14, s7
	v_mad_u64_u32 v[16:17], s[2:3], v14, s6, 0
	v_mul_lo_u32 v35, v35, s6
	v_add_u32_e32 v14, 1, v14
	v_ashrrev_i32_e32 v36, 31, v15
	v_add_u32_e32 v37, 1, v15
	v_add3_u32 v17, v17, v38, v35
	v_mul_lo_u32 v39, v15, s7
	v_mad_u64_u32 v[18:19], s[2:3], v15, s6, 0
	v_ashrrev_i32_e32 v40, 31, v14
	v_mul_lo_u32 v41, v14, s7
	v_mad_u64_u32 v[14:15], s[2:3], v14, s6, 0
	v_mul_lo_u32 v42, v36, s6
	v_ashrrev_i32_e32 v43, 31, v37
	v_mul_lo_u32 v44, v37, s7
	v_mad_u64_u32 v[36:37], s[2:3], v37, s6, 0
	v_lshlrev_b64 v[16:17], 3, v[16:17]
	v_add3_u32 v19, v19, v39, v42
	v_add_co_u32_e64 v16, s[2:3], v32, v16
	v_mul_lo_u32 v35, v40, s6
	v_lshlrev_b64 v[18:19], 3, v[18:19]
	v_addc_co_u32_e64 v17, s[2:3], v33, v17, s[2:3]
	v_add3_u32 v15, v15, v41, v35
	v_add_co_u32_e64 v18, s[2:3], v32, v18
	v_lshlrev_b64 v[14:15], 3, v[14:15]
	v_addc_co_u32_e64 v19, s[2:3], v33, v19, s[2:3]
	global_load_dwordx2 v[40:41], v[16:17], off
	v_mul_lo_u32 v38, v43, s6
	v_add_co_u32_e64 v14, s[2:3], v32, v14
	v_add3_u32 v37, v37, v44, v38
	v_addc_co_u32_e64 v15, s[2:3], v33, v15, s[2:3]
	v_lshlrev_b64 v[36:37], 3, v[36:37]
	global_load_dwordx2 v[42:43], v[14:15], off
	global_load_dwordx2 v[44:45], v[18:19], off
	v_add_co_u32_e64 v16, s[2:3], v32, v36
	v_addc_co_u32_e64 v17, s[2:3], v33, v37, s[2:3]
	global_load_dwordx2 v[18:19], v[16:17], off
	ds_read_b128 v[14:17], v8
	ds_read2_b64 v[36:39], v8 offset0:3 offset1:4
	v_add_u32_e32 v8, 48, v8
	s_waitcnt lgkmcnt(1)
	v_xor_b32_e32 v46, 0x80000000, v17
	v_mov_b32_e32 v47, v16
	s_waitcnt lgkmcnt(0)
	v_xor_b32_e32 v48, 0x80000000, v39
	v_mov_b32_e32 v49, v38
	s_waitcnt vmcnt(3)
	v_pk_fma_f32 v[12:13], v[14:15], v[40:41], v[12:13] op_sel_hi:[1,0,1]
	v_pk_fma_f32 v[12:13], v[14:15], v[40:41], v[12:13] op_sel:[1,1,0] op_sel_hi:[0,1,1] neg_lo:[1,0,0]
	s_waitcnt vmcnt(2)
	v_pk_fma_f32 v[12:13], v[16:17], v[42:43], v[12:13] op_sel_hi:[1,0,1]
	v_pk_fma_f32 v[12:13], v[46:47], v[42:43], v[12:13] op_sel:[0,1,0]
	s_waitcnt vmcnt(1)
	v_pk_fma_f32 v[12:13], v[36:37], v[44:45], v[12:13] op_sel_hi:[1,0,1]
	v_pk_fma_f32 v[12:13], v[36:37], v[44:45], v[12:13] op_sel:[1,1,0] op_sel_hi:[0,1,1] neg_lo:[1,0,0]
	s_waitcnt vmcnt(0)
	v_pk_fma_f32 v[12:13], v[38:39], v[18:19], v[12:13] op_sel_hi:[1,0,1]
	v_pk_fma_f32 v[12:13], v[48:49], v[18:19], v[12:13] op_sel:[0,1,0]
	s_cbranch_scc1 .LBB47_20
	s_branch .LBB47_15
.LBB47_21:                              ;   in Loop: Header=BB47_13 Depth=1
	s_or_b64 exec, exec, s[24:25]
.LBB47_22:                              ;   in Loop: Header=BB47_13 Depth=1
	s_or_b64 exec, exec, s[20:21]
	v_cmp_gt_i32_e32 vcc, s22, v10
	s_and_saveexec_b64 s[2:3], vcc
	s_cbranch_execz .LBB47_12
; %bb.23:                               ;   in Loop: Header=BB47_13 Depth=1
	s_and_saveexec_b64 s[20:21], s[8:9]
	s_xor_b64 s[20:21], exec, s[20:21]
	s_cbranch_execz .LBB47_28
; %bb.24:                               ;   in Loop: Header=BB47_13 Depth=1
	s_mov_b64 s[24:25], -1
	s_and_b64 vcc, exec, s[18:19]
	s_cbranch_vccz .LBB47_26
; %bb.25:                               ;   in Loop: Header=BB47_13 Depth=1
	v_lshlrev_b64 v[14:15], 3, v[10:11]
	v_add_co_u32_e32 v14, vcc, v28, v14
	v_addc_co_u32_e32 v15, vcc, v29, v15, vcc
	global_load_dwordx2 v[16:17], v[14:15], off
	v_pk_mul_f32 v[18:19], v[12:13], v[0:1] op_sel:[1,0]
	v_pk_fma_f32 v[18:19], v[2:3], v[12:13], v[18:19] op_sel_hi:[1,0,1]
	s_mov_b64 s[24:25], 0
	s_waitcnt vmcnt(0)
	v_pk_fma_f32 v[18:19], v[4:5], v[16:17], v[18:19] op_sel_hi:[1,0,1]
	v_pk_fma_f32 v[16:17], v[6:7], v[16:17], v[18:19] op_sel:[0,1,0]
	global_store_dwordx2 v[14:15], v[16:17], off
.LBB47_26:                              ;   in Loop: Header=BB47_13 Depth=1
	s_andn2_b64 vcc, exec, s[24:25]
	s_cbranch_vccnz .LBB47_28
; %bb.27:                               ;   in Loop: Header=BB47_13 Depth=1
	v_mul_lo_u32 v8, v11, s26
	v_mul_lo_u32 v14, v10, s27
	v_mad_u64_u32 v[10:11], s[24:25], v10, s26, 0
	v_add3_u32 v11, v11, v14, v8
	v_lshlrev_b64 v[10:11], 3, v[10:11]
	v_add_co_u32_e32 v10, vcc, v25, v10
	v_addc_co_u32_e32 v11, vcc, v26, v11, vcc
	global_load_dwordx2 v[14:15], v[10:11], off
	v_pk_mul_f32 v[16:17], v[12:13], v[0:1] op_sel:[1,0]
	v_pk_fma_f32 v[12:13], v[2:3], v[12:13], v[16:17] op_sel_hi:[1,0,1]
	s_waitcnt vmcnt(0)
	v_pk_fma_f32 v[12:13], v[4:5], v[14:15], v[12:13] op_sel_hi:[1,0,1]
	v_pk_fma_f32 v[12:13], v[6:7], v[14:15], v[12:13] op_sel:[0,1,0]
	global_store_dwordx2 v[10:11], v[12:13], off
                                        ; implicit-def: $vgpr12_vgpr13
                                        ; implicit-def: $vgpr10
.LBB47_28:                              ;   in Loop: Header=BB47_13 Depth=1
	s_andn2_saveexec_b64 s[20:21], s[20:21]
	s_cbranch_execz .LBB47_12
; %bb.29:                               ;   in Loop: Header=BB47_13 Depth=1
	v_pk_mul_f32 v[14:15], v[12:13], v[0:1] op_sel:[1,0]
	v_pk_fma_f32 v[12:13], v[2:3], v[12:13], v[14:15] op_sel_hi:[1,0,1]
	s_mov_b64 s[20:21], -1
	s_and_b64 vcc, exec, s[18:19]
	s_cbranch_vccz .LBB47_31
; %bb.30:                               ;   in Loop: Header=BB47_13 Depth=1
	v_lshlrev_b64 v[14:15], 3, v[10:11]
	v_add_co_u32_e32 v14, vcc, v28, v14
	v_addc_co_u32_e32 v15, vcc, v29, v15, vcc
	global_store_dwordx2 v[14:15], v[12:13], off
	s_mov_b64 s[20:21], 0
.LBB47_31:                              ;   in Loop: Header=BB47_13 Depth=1
	s_andn2_b64 vcc, exec, s[20:21]
	s_cbranch_vccnz .LBB47_12
; %bb.32:                               ;   in Loop: Header=BB47_13 Depth=1
	v_mul_lo_u32 v8, v11, s26
	v_mul_lo_u32 v14, v10, s27
	v_mad_u64_u32 v[10:11], s[20:21], v10, s26, 0
	v_add3_u32 v11, v11, v14, v8
	v_lshlrev_b64 v[10:11], 3, v[10:11]
	v_add_co_u32_e32 v10, vcc, v25, v10
	v_addc_co_u32_e32 v11, vcc, v26, v11, vcc
	global_store_dwordx2 v[10:11], v[12:13], off
	s_branch .LBB47_12
.LBB47_33:
	s_endpgm
.LBB47_34:
	v_pk_mov_b32 v[4:5], s[8:9], s[8:9] op_sel:[0,1]
	flat_load_dword v3, v[4:5] offset:4
	s_and_b64 vcc, exec, s[0:1]
	v_mov_b32_e32 v4, s2
	s_cbranch_vccnz .LBB47_4
.LBB47_35:
	v_pk_mov_b32 v[4:5], s[2:3], s[2:3] op_sel:[0,1]
	flat_load_dword v4, v[4:5]
	s_and_b64 vcc, exec, s[0:1]
	v_mov_b32_e32 v5, s3
	s_cbranch_vccz .LBB47_5
	s_branch .LBB47_6
	.section	.rodata,"a",@progbits
	.p2align	6, 0x0
	.amdhsa_kernel _ZN9rocsparseL29bsrmmnt_small_blockdim_kernelILj64ELj32ELj2Eii21rocsparse_complex_numIfES2_S2_S2_EEv20rocsparse_direction_T3_S4_llNS_24const_host_device_scalarIT7_EEPKT2_PKS4_PKT4_PKT5_llS7_PT6_ll16rocsparse_order_21rocsparse_index_base_b
		.amdhsa_group_segment_fixed_size 1792
		.amdhsa_private_segment_fixed_size 0
		.amdhsa_kernarg_size 392
		.amdhsa_user_sgpr_count 6
		.amdhsa_user_sgpr_private_segment_buffer 1
		.amdhsa_user_sgpr_dispatch_ptr 0
		.amdhsa_user_sgpr_queue_ptr 0
		.amdhsa_user_sgpr_kernarg_segment_ptr 1
		.amdhsa_user_sgpr_dispatch_id 0
		.amdhsa_user_sgpr_flat_scratch_init 0
		.amdhsa_user_sgpr_kernarg_preload_length 0
		.amdhsa_user_sgpr_kernarg_preload_offset 0
		.amdhsa_user_sgpr_private_segment_size 0
		.amdhsa_uses_dynamic_stack 0
		.amdhsa_system_sgpr_private_segment_wavefront_offset 0
		.amdhsa_system_sgpr_workgroup_id_x 1
		.amdhsa_system_sgpr_workgroup_id_y 0
		.amdhsa_system_sgpr_workgroup_id_z 0
		.amdhsa_system_sgpr_workgroup_info 0
		.amdhsa_system_vgpr_workitem_id 0
		.amdhsa_next_free_vgpr 50
		.amdhsa_next_free_sgpr 30
		.amdhsa_accum_offset 52
		.amdhsa_reserve_vcc 1
		.amdhsa_reserve_flat_scratch 0
		.amdhsa_float_round_mode_32 0
		.amdhsa_float_round_mode_16_64 0
		.amdhsa_float_denorm_mode_32 3
		.amdhsa_float_denorm_mode_16_64 3
		.amdhsa_dx10_clamp 1
		.amdhsa_ieee_mode 1
		.amdhsa_fp16_overflow 0
		.amdhsa_tg_split 0
		.amdhsa_exception_fp_ieee_invalid_op 0
		.amdhsa_exception_fp_denorm_src 0
		.amdhsa_exception_fp_ieee_div_zero 0
		.amdhsa_exception_fp_ieee_overflow 0
		.amdhsa_exception_fp_ieee_underflow 0
		.amdhsa_exception_fp_ieee_inexact 0
		.amdhsa_exception_int_div_zero 0
	.end_amdhsa_kernel
	.section	.text._ZN9rocsparseL29bsrmmnt_small_blockdim_kernelILj64ELj32ELj2Eii21rocsparse_complex_numIfES2_S2_S2_EEv20rocsparse_direction_T3_S4_llNS_24const_host_device_scalarIT7_EEPKT2_PKS4_PKT4_PKT5_llS7_PT6_ll16rocsparse_order_21rocsparse_index_base_b,"axG",@progbits,_ZN9rocsparseL29bsrmmnt_small_blockdim_kernelILj64ELj32ELj2Eii21rocsparse_complex_numIfES2_S2_S2_EEv20rocsparse_direction_T3_S4_llNS_24const_host_device_scalarIT7_EEPKT2_PKS4_PKT4_PKT5_llS7_PT6_ll16rocsparse_order_21rocsparse_index_base_b,comdat
.Lfunc_end47:
	.size	_ZN9rocsparseL29bsrmmnt_small_blockdim_kernelILj64ELj32ELj2Eii21rocsparse_complex_numIfES2_S2_S2_EEv20rocsparse_direction_T3_S4_llNS_24const_host_device_scalarIT7_EEPKT2_PKS4_PKT4_PKT5_llS7_PT6_ll16rocsparse_order_21rocsparse_index_base_b, .Lfunc_end47-_ZN9rocsparseL29bsrmmnt_small_blockdim_kernelILj64ELj32ELj2Eii21rocsparse_complex_numIfES2_S2_S2_EEv20rocsparse_direction_T3_S4_llNS_24const_host_device_scalarIT7_EEPKT2_PKS4_PKT4_PKT5_llS7_PT6_ll16rocsparse_order_21rocsparse_index_base_b
                                        ; -- End function
	.section	.AMDGPU.csdata,"",@progbits
; Kernel info:
; codeLenInByte = 1772
; NumSgprs: 34
; NumVgprs: 50
; NumAgprs: 0
; TotalNumVgprs: 50
; ScratchSize: 0
; MemoryBound: 0
; FloatMode: 240
; IeeeMode: 1
; LDSByteSize: 1792 bytes/workgroup (compile time only)
; SGPRBlocks: 4
; VGPRBlocks: 6
; NumSGPRsForWavesPerEU: 34
; NumVGPRsForWavesPerEU: 50
; AccumOffset: 52
; Occupancy: 8
; WaveLimiterHint : 1
; COMPUTE_PGM_RSRC2:SCRATCH_EN: 0
; COMPUTE_PGM_RSRC2:USER_SGPR: 6
; COMPUTE_PGM_RSRC2:TRAP_HANDLER: 0
; COMPUTE_PGM_RSRC2:TGID_X_EN: 1
; COMPUTE_PGM_RSRC2:TGID_Y_EN: 0
; COMPUTE_PGM_RSRC2:TGID_Z_EN: 0
; COMPUTE_PGM_RSRC2:TIDIG_COMP_CNT: 0
; COMPUTE_PGM_RSRC3_GFX90A:ACCUM_OFFSET: 12
; COMPUTE_PGM_RSRC3_GFX90A:TG_SPLIT: 0
	.section	.text._ZN9rocsparseL29bsrmmnt_small_blockdim_kernelILj64ELj64ELj2Eii21rocsparse_complex_numIfES2_S2_S2_EEv20rocsparse_direction_T3_S4_llNS_24const_host_device_scalarIT7_EEPKT2_PKS4_PKT4_PKT5_llS7_PT6_ll16rocsparse_order_21rocsparse_index_base_b,"axG",@progbits,_ZN9rocsparseL29bsrmmnt_small_blockdim_kernelILj64ELj64ELj2Eii21rocsparse_complex_numIfES2_S2_S2_EEv20rocsparse_direction_T3_S4_llNS_24const_host_device_scalarIT7_EEPKT2_PKS4_PKT4_PKT5_llS7_PT6_ll16rocsparse_order_21rocsparse_index_base_b,comdat
	.globl	_ZN9rocsparseL29bsrmmnt_small_blockdim_kernelILj64ELj64ELj2Eii21rocsparse_complex_numIfES2_S2_S2_EEv20rocsparse_direction_T3_S4_llNS_24const_host_device_scalarIT7_EEPKT2_PKS4_PKT4_PKT5_llS7_PT6_ll16rocsparse_order_21rocsparse_index_base_b ; -- Begin function _ZN9rocsparseL29bsrmmnt_small_blockdim_kernelILj64ELj64ELj2Eii21rocsparse_complex_numIfES2_S2_S2_EEv20rocsparse_direction_T3_S4_llNS_24const_host_device_scalarIT7_EEPKT2_PKS4_PKT4_PKT5_llS7_PT6_ll16rocsparse_order_21rocsparse_index_base_b
	.p2align	8
	.type	_ZN9rocsparseL29bsrmmnt_small_blockdim_kernelILj64ELj64ELj2Eii21rocsparse_complex_numIfES2_S2_S2_EEv20rocsparse_direction_T3_S4_llNS_24const_host_device_scalarIT7_EEPKT2_PKS4_PKT4_PKT5_llS7_PT6_ll16rocsparse_order_21rocsparse_index_base_b,@function
_ZN9rocsparseL29bsrmmnt_small_blockdim_kernelILj64ELj64ELj2Eii21rocsparse_complex_numIfES2_S2_S2_EEv20rocsparse_direction_T3_S4_llNS_24const_host_device_scalarIT7_EEPKT2_PKS4_PKT4_PKT5_llS7_PT6_ll16rocsparse_order_21rocsparse_index_base_b: ; @_ZN9rocsparseL29bsrmmnt_small_blockdim_kernelILj64ELj64ELj2Eii21rocsparse_complex_numIfES2_S2_S2_EEv20rocsparse_direction_T3_S4_llNS_24const_host_device_scalarIT7_EEPKT2_PKS4_PKT4_PKT5_llS7_PT6_ll16rocsparse_order_21rocsparse_index_base_b
; %bb.0:
	s_load_dwordx4 s[16:19], s[4:5], 0x78
	s_load_dwordx2 s[8:9], s[4:5], 0x20
	s_load_dwordx2 s[2:3], s[4:5], 0x58
	s_waitcnt lgkmcnt(0)
	s_bitcmp1_b32 s18, 0
	s_cselect_b64 s[0:1], -1, 0
	s_xor_b64 s[10:11], s[0:1], -1
	s_and_b64 vcc, exec, s[0:1]
	v_mov_b32_e32 v2, s8
	s_cbranch_vccnz .LBB48_2
; %bb.1:
	v_pk_mov_b32 v[2:3], s[8:9], s[8:9] op_sel:[0,1]
	flat_load_dword v2, v[2:3]
.LBB48_2:
	v_cndmask_b32_e64 v1, 0, 1, s[10:11]
	v_cmp_ne_u32_e64 s[0:1], 1, v1
	s_andn2_b64 vcc, exec, s[10:11]
	v_mov_b32_e32 v3, s9
	s_cbranch_vccz .LBB48_34
; %bb.3:
	s_and_b64 vcc, exec, s[0:1]
	v_mov_b32_e32 v4, s2
	s_cbranch_vccz .LBB48_35
.LBB48_4:
	s_and_b64 vcc, exec, s[0:1]
	v_mov_b32_e32 v5, s3
	s_cbranch_vccnz .LBB48_6
.LBB48_5:
	v_pk_mov_b32 v[6:7], s[2:3], s[2:3] op_sel:[0,1]
	flat_load_dword v5, v[6:7] offset:4
.LBB48_6:
	s_waitcnt vmcnt(0) lgkmcnt(0)
	v_and_b32_e32 v1, 0x7fffffff, v2
	v_cmp_eq_u32_e32 vcc, 0, v1
	v_cmp_eq_f32_e64 s[0:1], 0, v3
	s_and_b64 s[8:9], vcc, s[0:1]
	s_mov_b64 s[0:1], -1
	s_and_saveexec_b64 s[2:3], s[8:9]
; %bb.7:
	v_and_b32_e32 v1, 0x7fffffff, v5
	v_cmp_neq_f32_e32 vcc, 1.0, v4
	v_cmp_ne_u32_e64 s[0:1], 0, v1
	s_or_b64 s[0:1], vcc, s[0:1]
	s_orn2_b64 s[0:1], s[0:1], exec
; %bb.8:
	s_or_b64 exec, exec, s[2:3]
	s_and_saveexec_b64 s[2:3], s[0:1]
	s_cbranch_execz .LBB48_33
; %bb.9:
	s_load_dword s0, s[4:5], 0x94
	s_load_dwordx4 s[20:23], s[4:5], 0x0
	s_waitcnt lgkmcnt(0)
	s_and_b32 s0, s0, 0xffff
	s_mul_i32 s6, s6, s0
	v_add_u32_e32 v1, s6, v0
	v_lshrrev_b32_e32 v6, 7, v1
	v_cmp_gt_i32_e32 vcc, s21, v6
	s_and_b64 exec, exec, vcc
	s_cbranch_execz .LBB48_33
; %bb.10:
	s_cmp_lt_i32 s22, 1
	s_cbranch_scc1 .LBB48_33
; %bb.11:
	s_load_dwordx8 s[8:15], s[4:5], 0x28
	v_lshlrev_b32_e32 v6, 2, v6
	v_and_b32_e32 v10, 0x7fffffff, v4
	v_cmp_neq_f32_e32 vcc, 0, v5
	v_cmp_ne_u32_e64 s[0:1], 0, v10
	s_waitcnt lgkmcnt(0)
	global_load_dwordx2 v[12:13], v6, s[8:9]
	s_load_dwordx4 s[24:27], s[4:5], 0x60
	s_load_dwordx2 s[6:7], s[4:5], 0x48
	s_or_b64 s[8:9], s[0:1], vcc
	v_lshrrev_b32_e32 v16, 6, v1
	v_mul_u32_u24_e32 v14, 3, v0
	s_cmp_lg_u32 s16, 1
	v_lshlrev_b32_e32 v23, 3, v14
	s_cselect_b64 s[18:19], -1, 0
	s_cmp_eq_u32 s20, 0
	s_waitcnt lgkmcnt(0)
	v_mad_u64_u32 v[14:15], s[0:1], v16, s26, 0
	s_cselect_b64 s[0:1], -1, 0
	v_bfe_u32 v17, v1, 6, 1
	v_mov_b32_e32 v11, 0
	v_cndmask_b32_e64 v20, 0, 1, s[0:1]
	v_mov_b32_e32 v10, v15
	v_lshlrev_b32_e32 v18, 3, v16
	s_and_b64 s[0:1], s[0:1], exec
	v_lshlrev_b32_e32 v26, v20, v17
	v_mad_u64_u32 v[16:17], s[0:1], v16, s27, v[10:11]
	v_mov_b32_e32 v19, s25
	v_add_co_u32_e32 v24, vcc, s24, v18
	v_mov_b32_e32 v15, v16
	v_addc_co_u32_e32 v25, vcc, 0, v19, vcc
	v_lshlrev_b64 v[14:15], 3, v[14:15]
	v_mov_b32_e32 v1, 0x600
	v_add_co_u32_e32 v27, vcc, s24, v14
	s_mov_b32 s4, 0
	v_xor_b32_e32 v6, 0x80000000, v3
	v_xor_b32_e32 v8, 0x80000000, v5
	v_mov_b32_e32 v7, v2
	v_mov_b32_e32 v9, v4
	v_lshl_or_b32 v22, v0, 2, v1
	s_cselect_b32 s16, 1, 2
	v_addc_co_u32_e32 v28, vcc, v19, v15, vcc
	s_mov_b32 s23, 0
	s_waitcnt vmcnt(0)
	v_subrev_u32_e32 v29, s17, v12
	v_subrev_u32_e32 v30, s17, v13
	v_cmp_lt_i32_e64 s[0:1], v12, v13
	s_branch .LBB48_13
.LBB48_12:                              ;   in Loop: Header=BB48_13 Depth=1
	s_or_b64 exec, exec, s[2:3]
	s_add_i32 s23, s23, 64
	s_cmp_lt_i32 s23, s22
	s_cbranch_scc0 .LBB48_33
.LBB48_13:                              ; =>This Loop Header: Depth=1
                                        ;     Child Loop BB48_16 Depth 2
                                        ;       Child Loop BB48_20 Depth 3
	v_or_b32_e32 v12, s23, v0
	s_mov_b32 s5, s4
	v_pk_mov_b32 v[14:15], s[4:5], s[4:5] op_sel:[0,1]
	v_ashrrev_i32_e32 v13, 31, v12
	s_and_saveexec_b64 s[20:21], s[0:1]
	s_cbranch_execz .LBB48_22
; %bb.14:                               ;   in Loop: Header=BB48_13 Depth=1
	v_lshlrev_b64 v[14:15], 3, v[12:13]
	v_mov_b32_e32 v10, s15
	v_add_co_u32_e64 v31, s[2:3], s14, v14
	v_cmp_gt_i32_e32 vcc, s22, v12
	v_addc_co_u32_e64 v32, s[2:3], v10, v15, s[2:3]
	s_mov_b64 s[24:25], 0
	v_pk_mov_b32 v[14:15], s[4:5], s[4:5] op_sel:[0,1]
	v_mov_b32_e32 v33, v29
	s_branch .LBB48_16
.LBB48_15:                              ;   in Loop: Header=BB48_16 Depth=2
	s_or_b64 exec, exec, s[28:29]
	v_add_u32_e32 v33, 64, v33
	v_cmp_ge_i32_e64 s[2:3], v33, v30
	s_or_b64 s[24:25], s[2:3], s[24:25]
	s_andn2_b64 exec, exec, s[24:25]
	s_cbranch_execz .LBB48_21
.LBB48_16:                              ;   Parent Loop BB48_13 Depth=1
                                        ; =>  This Loop Header: Depth=2
                                        ;       Child Loop BB48_20 Depth 3
	v_add_u32_e32 v20, v33, v0
	v_cmp_lt_i32_e64 s[2:3], v20, v30
	v_mov_b32_e32 v10, 0
	v_mov_b32_e32 v16, 0
	;; [unrolled: 1-line block ×5, first 2 shown]
	s_and_saveexec_b64 s[28:29], s[2:3]
	s_cbranch_execz .LBB48_18
; %bb.17:                               ;   in Loop: Header=BB48_16 Depth=2
	v_ashrrev_i32_e32 v21, 31, v20
	v_lshlrev_b64 v[16:17], 2, v[20:21]
	v_mov_b32_e32 v10, s11
	v_add_co_u32_e64 v16, s[2:3], s10, v16
	v_addc_co_u32_e64 v17, s[2:3], v10, v17, s[2:3]
	v_lshl_or_b32 v10, v20, 2, v26
	global_load_dword v36, v[16:17], off
	v_lshlrev_b64 v[16:17], 3, v[10:11]
	v_mov_b32_e32 v18, s13
	v_add_co_u32_e64 v20, s[2:3], s12, v16
	v_or_b32_e32 v10, s16, v10
	v_addc_co_u32_e64 v21, s[2:3], v18, v17, s[2:3]
	v_lshlrev_b64 v[16:17], 3, v[10:11]
	v_add_co_u32_e64 v34, s[2:3], s12, v16
	v_addc_co_u32_e64 v35, s[2:3], v18, v17, s[2:3]
	global_load_dwordx2 v[16:17], v[20:21], off
	global_load_dwordx2 v[18:19], v[34:35], off
	s_waitcnt vmcnt(2)
	v_subrev_u32_e32 v10, s17, v36
	v_lshlrev_b32_e32 v10, 1, v10
.LBB48_18:                              ;   in Loop: Header=BB48_16 Depth=2
	s_or_b64 exec, exec, s[28:29]
	ds_write_b32 v22, v10
	s_waitcnt vmcnt(0)
	ds_write2_b64 v23, v[16:17], v[18:19] offset1:1
	s_waitcnt lgkmcnt(0)
	; wave barrier
	s_waitcnt lgkmcnt(0)
	s_and_saveexec_b64 s[28:29], vcc
	s_cbranch_execz .LBB48_15
; %bb.19:                               ;   in Loop: Header=BB48_16 Depth=2
	s_mov_b32 s5, 0
	v_mov_b32_e32 v10, 0
.LBB48_20:                              ;   Parent Loop BB48_13 Depth=1
                                        ;     Parent Loop BB48_16 Depth=2
                                        ; =>    This Inner Loop Header: Depth=3
	v_add_u32_e32 v16, s5, v1
	ds_read_b64 v[16:17], v16
	s_add_i32 s5, s5, 8
	s_cmpk_lg_i32 s5, 0x100
	s_waitcnt lgkmcnt(0)
	v_ashrrev_i32_e32 v34, 31, v16
	v_mul_lo_u32 v36, v16, s7
	v_mad_u64_u32 v[18:19], s[2:3], v16, s6, 0
	v_mul_lo_u32 v39, v34, s6
	v_add_u32_e32 v16, 1, v16
	v_ashrrev_i32_e32 v35, 31, v17
	v_add_u32_e32 v38, 1, v17
	v_add3_u32 v19, v19, v36, v39
	v_mul_lo_u32 v37, v17, s7
	v_mad_u64_u32 v[20:21], s[2:3], v17, s6, 0
	v_ashrrev_i32_e32 v40, 31, v16
	v_mul_lo_u32 v41, v16, s7
	v_mad_u64_u32 v[16:17], s[2:3], v16, s6, 0
	v_mul_lo_u32 v42, v35, s6
	v_mad_u64_u32 v[34:35], s[2:3], v38, s6, 0
	v_lshlrev_b64 v[18:19], 3, v[18:19]
	v_add3_u32 v21, v21, v37, v42
	v_add_co_u32_e64 v18, s[2:3], v31, v18
	v_mul_lo_u32 v36, v40, s6
	v_lshlrev_b64 v[20:21], 3, v[20:21]
	v_addc_co_u32_e64 v19, s[2:3], v32, v19, s[2:3]
	v_add3_u32 v17, v17, v41, v36
	v_add_co_u32_e64 v20, s[2:3], v31, v20
	v_ashrrev_i32_e32 v43, 31, v38
	v_mul_lo_u32 v44, v38, s7
	v_lshlrev_b64 v[16:17], 3, v[16:17]
	v_addc_co_u32_e64 v21, s[2:3], v32, v21, s[2:3]
	global_load_dwordx2 v[38:39], v[18:19], off
	v_mul_lo_u32 v37, v43, s6
	v_add_co_u32_e64 v16, s[2:3], v31, v16
	v_add3_u32 v35, v35, v44, v37
	v_addc_co_u32_e64 v17, s[2:3], v32, v17, s[2:3]
	v_lshlrev_b64 v[34:35], 3, v[34:35]
	global_load_dwordx2 v[40:41], v[16:17], off
	global_load_dwordx2 v[42:43], v[20:21], off
	v_add_co_u32_e64 v18, s[2:3], v31, v34
	v_addc_co_u32_e64 v19, s[2:3], v32, v35, s[2:3]
	global_load_dwordx2 v[20:21], v[18:19], off
	ds_read_b128 v[16:19], v10
	ds_read2_b64 v[34:37], v10 offset0:3 offset1:4
	v_add_u32_e32 v10, 48, v10
	s_waitcnt lgkmcnt(1)
	v_xor_b32_e32 v44, 0x80000000, v19
	v_mov_b32_e32 v45, v18
	s_waitcnt lgkmcnt(0)
	v_xor_b32_e32 v46, 0x80000000, v37
	v_mov_b32_e32 v47, v36
	s_waitcnt vmcnt(3)
	v_pk_fma_f32 v[14:15], v[16:17], v[38:39], v[14:15] op_sel_hi:[1,0,1]
	v_pk_fma_f32 v[14:15], v[16:17], v[38:39], v[14:15] op_sel:[1,1,0] op_sel_hi:[0,1,1] neg_lo:[1,0,0]
	s_waitcnt vmcnt(2)
	v_pk_fma_f32 v[14:15], v[18:19], v[40:41], v[14:15] op_sel_hi:[1,0,1]
	v_pk_fma_f32 v[14:15], v[44:45], v[40:41], v[14:15] op_sel:[0,1,0]
	s_waitcnt vmcnt(1)
	v_pk_fma_f32 v[14:15], v[34:35], v[42:43], v[14:15] op_sel_hi:[1,0,1]
	v_pk_fma_f32 v[14:15], v[34:35], v[42:43], v[14:15] op_sel:[1,1,0] op_sel_hi:[0,1,1] neg_lo:[1,0,0]
	s_waitcnt vmcnt(0)
	v_pk_fma_f32 v[14:15], v[36:37], v[20:21], v[14:15] op_sel_hi:[1,0,1]
	v_pk_fma_f32 v[14:15], v[46:47], v[20:21], v[14:15] op_sel:[0,1,0]
	s_cbranch_scc1 .LBB48_20
	s_branch .LBB48_15
.LBB48_21:                              ;   in Loop: Header=BB48_13 Depth=1
	s_or_b64 exec, exec, s[24:25]
.LBB48_22:                              ;   in Loop: Header=BB48_13 Depth=1
	s_or_b64 exec, exec, s[20:21]
	v_cmp_gt_i32_e32 vcc, s22, v12
	s_and_saveexec_b64 s[2:3], vcc
	s_cbranch_execz .LBB48_12
; %bb.23:                               ;   in Loop: Header=BB48_13 Depth=1
	s_and_saveexec_b64 s[20:21], s[8:9]
	s_xor_b64 s[20:21], exec, s[20:21]
	s_cbranch_execz .LBB48_28
; %bb.24:                               ;   in Loop: Header=BB48_13 Depth=1
	s_mov_b64 s[24:25], -1
	s_and_b64 vcc, exec, s[18:19]
	s_cbranch_vccz .LBB48_26
; %bb.25:                               ;   in Loop: Header=BB48_13 Depth=1
	v_lshlrev_b64 v[16:17], 3, v[12:13]
	v_add_co_u32_e32 v16, vcc, v27, v16
	v_addc_co_u32_e32 v17, vcc, v28, v17, vcc
	global_load_dwordx2 v[18:19], v[16:17], off
	v_pk_mul_f32 v[20:21], v[14:15], v[6:7] op_sel:[1,0]
	v_pk_fma_f32 v[20:21], v[2:3], v[14:15], v[20:21] op_sel_hi:[1,0,1]
	s_mov_b64 s[24:25], 0
	s_waitcnt vmcnt(0)
	v_pk_fma_f32 v[20:21], v[4:5], v[18:19], v[20:21] op_sel_hi:[1,0,1]
	v_pk_fma_f32 v[18:19], v[8:9], v[18:19], v[20:21] op_sel:[0,1,0]
	global_store_dwordx2 v[16:17], v[18:19], off
.LBB48_26:                              ;   in Loop: Header=BB48_13 Depth=1
	s_andn2_b64 vcc, exec, s[24:25]
	s_cbranch_vccnz .LBB48_28
; %bb.27:                               ;   in Loop: Header=BB48_13 Depth=1
	v_mul_lo_u32 v10, v13, s26
	v_mul_lo_u32 v16, v12, s27
	v_mad_u64_u32 v[12:13], s[24:25], v12, s26, 0
	v_add3_u32 v13, v13, v16, v10
	v_lshlrev_b64 v[12:13], 3, v[12:13]
	v_add_co_u32_e32 v12, vcc, v24, v12
	v_addc_co_u32_e32 v13, vcc, v25, v13, vcc
	global_load_dwordx2 v[16:17], v[12:13], off
	v_pk_mul_f32 v[18:19], v[14:15], v[6:7] op_sel:[1,0]
	v_pk_fma_f32 v[14:15], v[2:3], v[14:15], v[18:19] op_sel_hi:[1,0,1]
	s_waitcnt vmcnt(0)
	v_pk_fma_f32 v[14:15], v[4:5], v[16:17], v[14:15] op_sel_hi:[1,0,1]
	v_pk_fma_f32 v[14:15], v[8:9], v[16:17], v[14:15] op_sel:[0,1,0]
	global_store_dwordx2 v[12:13], v[14:15], off
                                        ; implicit-def: $vgpr14_vgpr15
                                        ; implicit-def: $vgpr12
.LBB48_28:                              ;   in Loop: Header=BB48_13 Depth=1
	s_andn2_saveexec_b64 s[20:21], s[20:21]
	s_cbranch_execz .LBB48_12
; %bb.29:                               ;   in Loop: Header=BB48_13 Depth=1
	v_pk_mul_f32 v[16:17], v[14:15], v[6:7] op_sel:[1,0]
	v_pk_fma_f32 v[14:15], v[2:3], v[14:15], v[16:17] op_sel_hi:[1,0,1]
	s_mov_b64 s[20:21], -1
	s_and_b64 vcc, exec, s[18:19]
	s_cbranch_vccz .LBB48_31
; %bb.30:                               ;   in Loop: Header=BB48_13 Depth=1
	v_lshlrev_b64 v[16:17], 3, v[12:13]
	v_add_co_u32_e32 v16, vcc, v27, v16
	v_addc_co_u32_e32 v17, vcc, v28, v17, vcc
	global_store_dwordx2 v[16:17], v[14:15], off
	s_mov_b64 s[20:21], 0
.LBB48_31:                              ;   in Loop: Header=BB48_13 Depth=1
	s_andn2_b64 vcc, exec, s[20:21]
	s_cbranch_vccnz .LBB48_12
; %bb.32:                               ;   in Loop: Header=BB48_13 Depth=1
	v_mul_lo_u32 v10, v13, s26
	v_mul_lo_u32 v16, v12, s27
	v_mad_u64_u32 v[12:13], s[20:21], v12, s26, 0
	v_add3_u32 v13, v13, v16, v10
	v_lshlrev_b64 v[12:13], 3, v[12:13]
	v_add_co_u32_e32 v12, vcc, v24, v12
	v_addc_co_u32_e32 v13, vcc, v25, v13, vcc
	global_store_dwordx2 v[12:13], v[14:15], off
	s_branch .LBB48_12
.LBB48_33:
	s_endpgm
.LBB48_34:
	v_pk_mov_b32 v[4:5], s[8:9], s[8:9] op_sel:[0,1]
	flat_load_dword v3, v[4:5] offset:4
	s_and_b64 vcc, exec, s[0:1]
	v_mov_b32_e32 v4, s2
	s_cbranch_vccnz .LBB48_4
.LBB48_35:
	v_pk_mov_b32 v[4:5], s[2:3], s[2:3] op_sel:[0,1]
	flat_load_dword v4, v[4:5]
	s_and_b64 vcc, exec, s[0:1]
	v_mov_b32_e32 v5, s3
	s_cbranch_vccz .LBB48_5
	s_branch .LBB48_6
	.section	.rodata,"a",@progbits
	.p2align	6, 0x0
	.amdhsa_kernel _ZN9rocsparseL29bsrmmnt_small_blockdim_kernelILj64ELj64ELj2Eii21rocsparse_complex_numIfES2_S2_S2_EEv20rocsparse_direction_T3_S4_llNS_24const_host_device_scalarIT7_EEPKT2_PKS4_PKT4_PKT5_llS7_PT6_ll16rocsparse_order_21rocsparse_index_base_b
		.amdhsa_group_segment_fixed_size 1792
		.amdhsa_private_segment_fixed_size 0
		.amdhsa_kernarg_size 392
		.amdhsa_user_sgpr_count 6
		.amdhsa_user_sgpr_private_segment_buffer 1
		.amdhsa_user_sgpr_dispatch_ptr 0
		.amdhsa_user_sgpr_queue_ptr 0
		.amdhsa_user_sgpr_kernarg_segment_ptr 1
		.amdhsa_user_sgpr_dispatch_id 0
		.amdhsa_user_sgpr_flat_scratch_init 0
		.amdhsa_user_sgpr_kernarg_preload_length 0
		.amdhsa_user_sgpr_kernarg_preload_offset 0
		.amdhsa_user_sgpr_private_segment_size 0
		.amdhsa_uses_dynamic_stack 0
		.amdhsa_system_sgpr_private_segment_wavefront_offset 0
		.amdhsa_system_sgpr_workgroup_id_x 1
		.amdhsa_system_sgpr_workgroup_id_y 0
		.amdhsa_system_sgpr_workgroup_id_z 0
		.amdhsa_system_sgpr_workgroup_info 0
		.amdhsa_system_vgpr_workitem_id 0
		.amdhsa_next_free_vgpr 48
		.amdhsa_next_free_sgpr 30
		.amdhsa_accum_offset 48
		.amdhsa_reserve_vcc 1
		.amdhsa_reserve_flat_scratch 0
		.amdhsa_float_round_mode_32 0
		.amdhsa_float_round_mode_16_64 0
		.amdhsa_float_denorm_mode_32 3
		.amdhsa_float_denorm_mode_16_64 3
		.amdhsa_dx10_clamp 1
		.amdhsa_ieee_mode 1
		.amdhsa_fp16_overflow 0
		.amdhsa_tg_split 0
		.amdhsa_exception_fp_ieee_invalid_op 0
		.amdhsa_exception_fp_denorm_src 0
		.amdhsa_exception_fp_ieee_div_zero 0
		.amdhsa_exception_fp_ieee_overflow 0
		.amdhsa_exception_fp_ieee_underflow 0
		.amdhsa_exception_fp_ieee_inexact 0
		.amdhsa_exception_int_div_zero 0
	.end_amdhsa_kernel
	.section	.text._ZN9rocsparseL29bsrmmnt_small_blockdim_kernelILj64ELj64ELj2Eii21rocsparse_complex_numIfES2_S2_S2_EEv20rocsparse_direction_T3_S4_llNS_24const_host_device_scalarIT7_EEPKT2_PKS4_PKT4_PKT5_llS7_PT6_ll16rocsparse_order_21rocsparse_index_base_b,"axG",@progbits,_ZN9rocsparseL29bsrmmnt_small_blockdim_kernelILj64ELj64ELj2Eii21rocsparse_complex_numIfES2_S2_S2_EEv20rocsparse_direction_T3_S4_llNS_24const_host_device_scalarIT7_EEPKT2_PKS4_PKT4_PKT5_llS7_PT6_ll16rocsparse_order_21rocsparse_index_base_b,comdat
.Lfunc_end48:
	.size	_ZN9rocsparseL29bsrmmnt_small_blockdim_kernelILj64ELj64ELj2Eii21rocsparse_complex_numIfES2_S2_S2_EEv20rocsparse_direction_T3_S4_llNS_24const_host_device_scalarIT7_EEPKT2_PKS4_PKT4_PKT5_llS7_PT6_ll16rocsparse_order_21rocsparse_index_base_b, .Lfunc_end48-_ZN9rocsparseL29bsrmmnt_small_blockdim_kernelILj64ELj64ELj2Eii21rocsparse_complex_numIfES2_S2_S2_EEv20rocsparse_direction_T3_S4_llNS_24const_host_device_scalarIT7_EEPKT2_PKS4_PKT4_PKT5_llS7_PT6_ll16rocsparse_order_21rocsparse_index_base_b
                                        ; -- End function
	.section	.AMDGPU.csdata,"",@progbits
; Kernel info:
; codeLenInByte = 1736
; NumSgprs: 34
; NumVgprs: 48
; NumAgprs: 0
; TotalNumVgprs: 48
; ScratchSize: 0
; MemoryBound: 0
; FloatMode: 240
; IeeeMode: 1
; LDSByteSize: 1792 bytes/workgroup (compile time only)
; SGPRBlocks: 4
; VGPRBlocks: 5
; NumSGPRsForWavesPerEU: 34
; NumVGPRsForWavesPerEU: 48
; AccumOffset: 48
; Occupancy: 8
; WaveLimiterHint : 1
; COMPUTE_PGM_RSRC2:SCRATCH_EN: 0
; COMPUTE_PGM_RSRC2:USER_SGPR: 6
; COMPUTE_PGM_RSRC2:TRAP_HANDLER: 0
; COMPUTE_PGM_RSRC2:TGID_X_EN: 1
; COMPUTE_PGM_RSRC2:TGID_Y_EN: 0
; COMPUTE_PGM_RSRC2:TGID_Z_EN: 0
; COMPUTE_PGM_RSRC2:TIDIG_COMP_CNT: 0
; COMPUTE_PGM_RSRC3_GFX90A:ACCUM_OFFSET: 11
; COMPUTE_PGM_RSRC3_GFX90A:TG_SPLIT: 0
	.section	.text._ZN9rocsparseL29bsrmmnt_small_blockdim_kernelILj64ELj8ELj2Eli21rocsparse_complex_numIfES2_S2_S2_EEv20rocsparse_direction_T3_S4_llNS_24const_host_device_scalarIT7_EEPKT2_PKS4_PKT4_PKT5_llS7_PT6_ll16rocsparse_order_21rocsparse_index_base_b,"axG",@progbits,_ZN9rocsparseL29bsrmmnt_small_blockdim_kernelILj64ELj8ELj2Eli21rocsparse_complex_numIfES2_S2_S2_EEv20rocsparse_direction_T3_S4_llNS_24const_host_device_scalarIT7_EEPKT2_PKS4_PKT4_PKT5_llS7_PT6_ll16rocsparse_order_21rocsparse_index_base_b,comdat
	.globl	_ZN9rocsparseL29bsrmmnt_small_blockdim_kernelILj64ELj8ELj2Eli21rocsparse_complex_numIfES2_S2_S2_EEv20rocsparse_direction_T3_S4_llNS_24const_host_device_scalarIT7_EEPKT2_PKS4_PKT4_PKT5_llS7_PT6_ll16rocsparse_order_21rocsparse_index_base_b ; -- Begin function _ZN9rocsparseL29bsrmmnt_small_blockdim_kernelILj64ELj8ELj2Eli21rocsparse_complex_numIfES2_S2_S2_EEv20rocsparse_direction_T3_S4_llNS_24const_host_device_scalarIT7_EEPKT2_PKS4_PKT4_PKT5_llS7_PT6_ll16rocsparse_order_21rocsparse_index_base_b
	.p2align	8
	.type	_ZN9rocsparseL29bsrmmnt_small_blockdim_kernelILj64ELj8ELj2Eli21rocsparse_complex_numIfES2_S2_S2_EEv20rocsparse_direction_T3_S4_llNS_24const_host_device_scalarIT7_EEPKT2_PKS4_PKT4_PKT5_llS7_PT6_ll16rocsparse_order_21rocsparse_index_base_b,@function
_ZN9rocsparseL29bsrmmnt_small_blockdim_kernelILj64ELj8ELj2Eli21rocsparse_complex_numIfES2_S2_S2_EEv20rocsparse_direction_T3_S4_llNS_24const_host_device_scalarIT7_EEPKT2_PKS4_PKT4_PKT5_llS7_PT6_ll16rocsparse_order_21rocsparse_index_base_b: ; @_ZN9rocsparseL29bsrmmnt_small_blockdim_kernelILj64ELj8ELj2Eli21rocsparse_complex_numIfES2_S2_S2_EEv20rocsparse_direction_T3_S4_llNS_24const_host_device_scalarIT7_EEPKT2_PKS4_PKT4_PKT5_llS7_PT6_ll16rocsparse_order_21rocsparse_index_base_b
; %bb.0:
	s_load_dwordx4 s[16:19], s[4:5], 0x78
	s_load_dwordx2 s[8:9], s[4:5], 0x20
	s_load_dwordx2 s[2:3], s[4:5], 0x58
	s_waitcnt lgkmcnt(0)
	s_bitcmp1_b32 s18, 0
	s_cselect_b64 s[0:1], -1, 0
	s_xor_b64 s[10:11], s[0:1], -1
	s_and_b64 vcc, exec, s[0:1]
	v_mov_b32_e32 v2, s8
	s_cbranch_vccnz .LBB49_2
; %bb.1:
	v_pk_mov_b32 v[2:3], s[8:9], s[8:9] op_sel:[0,1]
	flat_load_dword v2, v[2:3]
.LBB49_2:
	v_cndmask_b32_e64 v1, 0, 1, s[10:11]
	v_cmp_ne_u32_e64 s[0:1], 1, v1
	s_andn2_b64 vcc, exec, s[10:11]
	v_mov_b32_e32 v3, s9
	s_cbranch_vccz .LBB49_34
; %bb.3:
	s_and_b64 vcc, exec, s[0:1]
	v_mov_b32_e32 v4, s2
	s_cbranch_vccz .LBB49_35
.LBB49_4:
	s_and_b64 vcc, exec, s[0:1]
	v_mov_b32_e32 v5, s3
	s_cbranch_vccnz .LBB49_6
.LBB49_5:
	v_pk_mov_b32 v[6:7], s[2:3], s[2:3] op_sel:[0,1]
	flat_load_dword v5, v[6:7] offset:4
.LBB49_6:
	s_waitcnt vmcnt(0) lgkmcnt(0)
	v_and_b32_e32 v1, 0x7fffffff, v2
	v_cmp_eq_u32_e32 vcc, 0, v1
	v_cmp_eq_f32_e64 s[0:1], 0, v3
	s_and_b64 s[8:9], vcc, s[0:1]
	s_mov_b64 s[0:1], -1
	s_and_saveexec_b64 s[2:3], s[8:9]
; %bb.7:
	v_and_b32_e32 v1, 0x7fffffff, v5
	v_cmp_neq_f32_e32 vcc, 1.0, v4
	v_cmp_ne_u32_e64 s[0:1], 0, v1
	s_or_b64 s[0:1], vcc, s[0:1]
	s_orn2_b64 s[0:1], s[0:1], exec
; %bb.8:
	s_or_b64 exec, exec, s[2:3]
	s_and_saveexec_b64 s[2:3], s[0:1]
	s_cbranch_execz .LBB49_33
; %bb.9:
	s_load_dword s0, s[4:5], 0x94
	s_load_dwordx4 s[20:23], s[4:5], 0x0
	s_waitcnt lgkmcnt(0)
	s_and_b32 s0, s0, 0xffff
	s_mul_i32 s6, s6, s0
	v_add_u32_e32 v1, s6, v0
	v_lshrrev_b32_e32 v6, 4, v1
	v_cmp_gt_i32_e32 vcc, s21, v6
	s_and_b64 exec, exec, vcc
	s_cbranch_execz .LBB49_33
; %bb.10:
	s_cmp_lt_i32 s22, 1
	s_cbranch_scc1 .LBB49_33
; %bb.11:
	s_load_dwordx8 s[8:15], s[4:5], 0x28
	v_lshlrev_b32_e32 v6, 3, v6
	v_and_b32_e32 v11, 0x7fffffff, v4
	v_cmp_neq_f32_e32 vcc, 0, v5
	v_cmp_ne_u32_e64 s[0:1], 0, v11
	s_waitcnt lgkmcnt(0)
	global_load_dwordx4 v[16:19], v6, s[8:9]
	s_load_dwordx4 s[24:27], s[4:5], 0x60
	s_load_dwordx2 s[8:9], s[4:5], 0x48
	v_and_b32_e32 v6, 7, v0
	v_mul_u32_u24_e32 v13, 3, v6
	s_or_b64 s[4:5], s[0:1], vcc
	v_lshrrev_b32_e32 v15, 3, v1
	v_lshrrev_b32_e32 v12, 3, v0
	v_mov_b32_e32 v7, 0x600
	s_movk_i32 s2, 0xc0
	v_lshlrev_b32_e32 v13, 3, v13
	s_cmp_lg_u32 s16, 1
	v_lshl_or_b32 v7, v12, 5, v7
	v_mul_u32_u24_e32 v11, 0xc0, v12
	v_mad_u32_u24 v29, v12, s2, v13
	s_cselect_b64 s[18:19], -1, 0
	s_cmp_eq_u32 s20, 0
	s_waitcnt lgkmcnt(0)
	v_mad_u64_u32 v[12:13], s[0:1], v15, s26, 0
	s_cselect_b64 s[0:1], -1, 0
	v_mov_b32_e32 v14, v13
	v_and_b32_e32 v20, -8, v1
	v_cndmask_b32_e64 v22, 0, 1, s[0:1]
	s_and_b64 s[0:1], s[0:1], exec
	v_mad_u64_u32 v[14:15], s[0:1], v15, s27, v[14:15]
	v_mov_b32_e32 v21, s25
	v_add_co_u32_e32 v30, vcc, s24, v20
	v_mov_b32_e32 v13, v14
	v_addc_co_u32_e32 v31, vcc, 0, v21, vcc
	v_lshlrev_b64 v[12:13], 3, v[12:13]
	v_add_co_u32_e32 v32, vcc, s24, v12
	v_addc_co_u32_e32 v33, vcc, v21, v13, vcc
	v_bfe_u32 v10, v1, 3, 1
	s_mov_b32 s6, 0
	v_xor_b32_e32 v0, 0x80000000, v3
	v_xor_b32_e32 v8, 0x80000000, v5
	v_mov_b32_e32 v1, v2
	v_mov_b32_e32 v9, v4
	v_lshl_or_b32 v28, v6, 2, v7
	v_lshlrev_b32_e32 v10, v22, v10
	s_cselect_b32 s16, 1, 2
	s_mov_b32 s23, 0
	s_waitcnt vmcnt(0)
	v_subrev_co_u32_e32 v12, vcc, s17, v16
	v_subbrev_co_u32_e32 v13, vcc, 0, v17, vcc
	v_subrev_co_u32_e32 v14, vcc, s17, v18
	v_subbrev_co_u32_e32 v15, vcc, 0, v19, vcc
	v_cmp_lt_i64_e64 s[0:1], v[16:17], v[18:19]
	s_branch .LBB49_13
.LBB49_12:                              ;   in Loop: Header=BB49_13 Depth=1
	s_or_b64 exec, exec, s[2:3]
	s_add_i32 s23, s23, 8
	s_cmp_lt_i32 s23, s22
	s_cbranch_scc0 .LBB49_33
.LBB49_13:                              ; =>This Loop Header: Depth=1
                                        ;     Child Loop BB49_16 Depth 2
                                        ;       Child Loop BB49_20 Depth 3
	v_or_b32_e32 v16, s23, v6
	s_mov_b32 s7, s6
	v_pk_mov_b32 v[18:19], s[6:7], s[6:7] op_sel:[0,1]
	v_ashrrev_i32_e32 v17, 31, v16
	s_and_saveexec_b64 s[20:21], s[0:1]
	s_cbranch_execz .LBB49_22
; %bb.14:                               ;   in Loop: Header=BB49_13 Depth=1
	v_lshlrev_b64 v[18:19], 3, v[16:17]
	v_mov_b32_e32 v20, s15
	v_add_co_u32_e64 v34, s[2:3], s14, v18
	v_cmp_gt_i32_e32 vcc, s22, v16
	v_addc_co_u32_e64 v35, s[2:3], v20, v19, s[2:3]
	s_mov_b64 s[24:25], 0
	v_pk_mov_b32 v[18:19], s[6:7], s[6:7] op_sel:[0,1]
	v_pk_mov_b32 v[20:21], v[12:13], v[12:13] op_sel:[0,1]
	s_branch .LBB49_16
.LBB49_15:                              ;   in Loop: Header=BB49_16 Depth=2
	s_or_b64 exec, exec, s[28:29]
	v_add_co_u32_e64 v20, s[2:3], 8, v20
	v_addc_co_u32_e64 v21, s[2:3], 0, v21, s[2:3]
	v_cmp_ge_i64_e64 s[2:3], v[20:21], v[14:15]
	s_or_b64 s[24:25], s[2:3], s[24:25]
	s_andn2_b64 exec, exec, s[24:25]
	s_cbranch_execz .LBB49_21
.LBB49_16:                              ;   Parent Loop BB49_13 Depth=1
                                        ; =>  This Loop Header: Depth=2
                                        ;       Child Loop BB49_20 Depth 3
	v_add_co_u32_e64 v26, s[2:3], v20, v6
	v_addc_co_u32_e64 v27, s[2:3], 0, v21, s[2:3]
	v_cmp_lt_i64_e64 s[2:3], v[26:27], v[14:15]
	v_mov_b32_e32 v36, 0
	v_mov_b32_e32 v22, 0
	;; [unrolled: 1-line block ×5, first 2 shown]
	s_and_saveexec_b64 s[28:29], s[2:3]
	s_cbranch_execz .LBB49_18
; %bb.17:                               ;   in Loop: Header=BB49_16 Depth=2
	v_lshlrev_b64 v[22:23], 2, v[26:27]
	v_mov_b32_e32 v25, s11
	v_add_co_u32_e64 v24, s[2:3], s10, v22
	v_addc_co_u32_e64 v25, s[2:3], v25, v23, s[2:3]
	v_or_b32_e32 v23, 0, v23
	v_or_b32_e32 v22, v22, v10
	global_load_dword v38, v[24:25], off
	v_lshlrev_b64 v[24:25], 3, v[22:23]
	v_mov_b32_e32 v37, s13
	v_add_co_u32_e64 v26, s[2:3], s12, v24
	v_or_b32_e32 v23, 0, v23
	v_or_b32_e32 v22, s16, v22
	v_addc_co_u32_e64 v27, s[2:3], v37, v25, s[2:3]
	v_lshlrev_b64 v[22:23], 3, v[22:23]
	v_add_co_u32_e64 v36, s[2:3], s12, v22
	v_addc_co_u32_e64 v37, s[2:3], v37, v23, s[2:3]
	global_load_dwordx2 v[22:23], v[26:27], off
	global_load_dwordx2 v[24:25], v[36:37], off
	s_waitcnt vmcnt(2)
	v_subrev_u32_e32 v26, s17, v38
	v_lshlrev_b32_e32 v36, 1, v26
.LBB49_18:                              ;   in Loop: Header=BB49_16 Depth=2
	s_or_b64 exec, exec, s[28:29]
	ds_write_b32 v28, v36
	s_waitcnt vmcnt(0)
	ds_write2_b64 v29, v[22:23], v[24:25] offset1:1
	s_waitcnt lgkmcnt(0)
	; wave barrier
	s_waitcnt lgkmcnt(0)
	s_and_saveexec_b64 s[28:29], vcc
	s_cbranch_execz .LBB49_15
; %bb.19:                               ;   in Loop: Header=BB49_16 Depth=2
	s_mov_b32 s7, 0
	v_mov_b32_e32 v22, v11
.LBB49_20:                              ;   Parent Loop BB49_13 Depth=1
                                        ;     Parent Loop BB49_16 Depth=2
                                        ; =>    This Inner Loop Header: Depth=3
	v_add_u32_e32 v23, s7, v7
	ds_read_b64 v[24:25], v23
	s_add_i32 s7, s7, 8
	s_cmp_lg_u32 s7, 32
	s_waitcnt lgkmcnt(0)
	v_ashrrev_i32_e32 v23, 31, v24
	v_mul_lo_u32 v40, v24, s9
	v_mad_u64_u32 v[26:27], s[2:3], v24, s8, 0
	v_mul_lo_u32 v23, v23, s8
	v_add_u32_e32 v24, 1, v24
	v_ashrrev_i32_e32 v38, 31, v25
	v_add_u32_e32 v39, 1, v25
	v_add3_u32 v27, v27, v40, v23
	v_mul_lo_u32 v41, v25, s9
	v_mad_u64_u32 v[36:37], s[2:3], v25, s8, 0
	v_ashrrev_i32_e32 v42, 31, v24
	v_mul_lo_u32 v43, v24, s9
	v_mad_u64_u32 v[24:25], s[2:3], v24, s8, 0
	v_mul_lo_u32 v44, v38, s8
	v_ashrrev_i32_e32 v45, 31, v39
	v_mul_lo_u32 v46, v39, s9
	v_mad_u64_u32 v[38:39], s[2:3], v39, s8, 0
	v_lshlrev_b64 v[26:27], 3, v[26:27]
	v_add3_u32 v37, v37, v41, v44
	v_add_co_u32_e64 v26, s[2:3], v34, v26
	v_mul_lo_u32 v23, v42, s8
	v_lshlrev_b64 v[36:37], 3, v[36:37]
	v_addc_co_u32_e64 v27, s[2:3], v35, v27, s[2:3]
	v_mul_lo_u32 v40, v45, s8
	v_add3_u32 v25, v25, v43, v23
	v_add_co_u32_e64 v36, s[2:3], v34, v36
	v_add3_u32 v39, v39, v46, v40
	v_lshlrev_b64 v[24:25], 3, v[24:25]
	v_addc_co_u32_e64 v37, s[2:3], v35, v37, s[2:3]
	global_load_dwordx2 v[40:41], v[26:27], off
	v_add_co_u32_e64 v24, s[2:3], v34, v24
	v_addc_co_u32_e64 v25, s[2:3], v35, v25, s[2:3]
	v_lshlrev_b64 v[38:39], 3, v[38:39]
	global_load_dwordx2 v[42:43], v[24:25], off
	global_load_dwordx2 v[44:45], v[36:37], off
	v_add_co_u32_e64 v26, s[2:3], v34, v38
	v_addc_co_u32_e64 v27, s[2:3], v35, v39, s[2:3]
	global_load_dwordx2 v[46:47], v[26:27], off
	ds_read_b128 v[24:27], v22
	ds_read2_b64 v[36:39], v22 offset0:3 offset1:4
	v_add_u32_e32 v22, 48, v22
	s_waitcnt lgkmcnt(1)
	v_xor_b32_e32 v48, 0x80000000, v27
	v_mov_b32_e32 v49, v26
	s_waitcnt lgkmcnt(0)
	v_xor_b32_e32 v50, 0x80000000, v39
	v_mov_b32_e32 v51, v38
	s_waitcnt vmcnt(3)
	v_pk_fma_f32 v[18:19], v[24:25], v[40:41], v[18:19] op_sel_hi:[1,0,1]
	v_pk_fma_f32 v[18:19], v[24:25], v[40:41], v[18:19] op_sel:[1,1,0] op_sel_hi:[0,1,1] neg_lo:[1,0,0]
	s_waitcnt vmcnt(2)
	v_pk_fma_f32 v[18:19], v[26:27], v[42:43], v[18:19] op_sel_hi:[1,0,1]
	v_pk_fma_f32 v[18:19], v[48:49], v[42:43], v[18:19] op_sel:[0,1,0]
	s_waitcnt vmcnt(1)
	v_pk_fma_f32 v[18:19], v[36:37], v[44:45], v[18:19] op_sel_hi:[1,0,1]
	v_pk_fma_f32 v[18:19], v[36:37], v[44:45], v[18:19] op_sel:[1,1,0] op_sel_hi:[0,1,1] neg_lo:[1,0,0]
	s_waitcnt vmcnt(0)
	v_pk_fma_f32 v[18:19], v[38:39], v[46:47], v[18:19] op_sel_hi:[1,0,1]
	v_pk_fma_f32 v[18:19], v[50:51], v[46:47], v[18:19] op_sel:[0,1,0]
	s_cbranch_scc1 .LBB49_20
	s_branch .LBB49_15
.LBB49_21:                              ;   in Loop: Header=BB49_13 Depth=1
	s_or_b64 exec, exec, s[24:25]
.LBB49_22:                              ;   in Loop: Header=BB49_13 Depth=1
	s_or_b64 exec, exec, s[20:21]
	v_cmp_gt_i32_e32 vcc, s22, v16
	s_and_saveexec_b64 s[2:3], vcc
	s_cbranch_execz .LBB49_12
; %bb.23:                               ;   in Loop: Header=BB49_13 Depth=1
	s_and_saveexec_b64 s[20:21], s[4:5]
	s_xor_b64 s[20:21], exec, s[20:21]
	s_cbranch_execz .LBB49_28
; %bb.24:                               ;   in Loop: Header=BB49_13 Depth=1
	s_mov_b64 s[24:25], -1
	s_and_b64 vcc, exec, s[18:19]
	s_cbranch_vccz .LBB49_26
; %bb.25:                               ;   in Loop: Header=BB49_13 Depth=1
	v_lshlrev_b64 v[20:21], 3, v[16:17]
	v_add_co_u32_e32 v20, vcc, v32, v20
	v_addc_co_u32_e32 v21, vcc, v33, v21, vcc
	global_load_dwordx2 v[22:23], v[20:21], off
	v_pk_mul_f32 v[24:25], v[18:19], v[0:1] op_sel:[1,0]
	v_pk_fma_f32 v[24:25], v[2:3], v[18:19], v[24:25] op_sel_hi:[1,0,1]
	s_mov_b64 s[24:25], 0
	s_waitcnt vmcnt(0)
	v_pk_fma_f32 v[24:25], v[4:5], v[22:23], v[24:25] op_sel_hi:[1,0,1]
	v_pk_fma_f32 v[22:23], v[8:9], v[22:23], v[24:25] op_sel:[0,1,0]
	global_store_dwordx2 v[20:21], v[22:23], off
.LBB49_26:                              ;   in Loop: Header=BB49_13 Depth=1
	s_andn2_b64 vcc, exec, s[24:25]
	s_cbranch_vccnz .LBB49_28
; %bb.27:                               ;   in Loop: Header=BB49_13 Depth=1
	v_mul_lo_u32 v20, v17, s26
	v_mul_lo_u32 v21, v16, s27
	v_mad_u64_u32 v[16:17], s[24:25], v16, s26, 0
	v_add3_u32 v17, v17, v21, v20
	v_lshlrev_b64 v[16:17], 3, v[16:17]
	v_add_co_u32_e32 v16, vcc, v30, v16
	v_addc_co_u32_e32 v17, vcc, v31, v17, vcc
	global_load_dwordx2 v[20:21], v[16:17], off
	v_pk_mul_f32 v[22:23], v[18:19], v[0:1] op_sel:[1,0]
	v_pk_fma_f32 v[18:19], v[2:3], v[18:19], v[22:23] op_sel_hi:[1,0,1]
	s_waitcnt vmcnt(0)
	v_pk_fma_f32 v[18:19], v[4:5], v[20:21], v[18:19] op_sel_hi:[1,0,1]
	v_pk_fma_f32 v[18:19], v[8:9], v[20:21], v[18:19] op_sel:[0,1,0]
	global_store_dwordx2 v[16:17], v[18:19], off
                                        ; implicit-def: $vgpr18_vgpr19
                                        ; implicit-def: $vgpr16
.LBB49_28:                              ;   in Loop: Header=BB49_13 Depth=1
	s_andn2_saveexec_b64 s[20:21], s[20:21]
	s_cbranch_execz .LBB49_12
; %bb.29:                               ;   in Loop: Header=BB49_13 Depth=1
	v_pk_mul_f32 v[20:21], v[18:19], v[0:1] op_sel:[1,0]
	v_pk_fma_f32 v[18:19], v[2:3], v[18:19], v[20:21] op_sel_hi:[1,0,1]
	s_mov_b64 s[20:21], -1
	s_and_b64 vcc, exec, s[18:19]
	s_cbranch_vccz .LBB49_31
; %bb.30:                               ;   in Loop: Header=BB49_13 Depth=1
	v_lshlrev_b64 v[20:21], 3, v[16:17]
	v_add_co_u32_e32 v20, vcc, v32, v20
	v_addc_co_u32_e32 v21, vcc, v33, v21, vcc
	global_store_dwordx2 v[20:21], v[18:19], off
	s_mov_b64 s[20:21], 0
.LBB49_31:                              ;   in Loop: Header=BB49_13 Depth=1
	s_andn2_b64 vcc, exec, s[20:21]
	s_cbranch_vccnz .LBB49_12
; %bb.32:                               ;   in Loop: Header=BB49_13 Depth=1
	v_mul_lo_u32 v20, v17, s26
	v_mul_lo_u32 v21, v16, s27
	v_mad_u64_u32 v[16:17], s[20:21], v16, s26, 0
	v_add3_u32 v17, v17, v21, v20
	v_lshlrev_b64 v[16:17], 3, v[16:17]
	v_add_co_u32_e32 v16, vcc, v30, v16
	v_addc_co_u32_e32 v17, vcc, v31, v17, vcc
	global_store_dwordx2 v[16:17], v[18:19], off
	s_branch .LBB49_12
.LBB49_33:
	s_endpgm
.LBB49_34:
	v_pk_mov_b32 v[4:5], s[8:9], s[8:9] op_sel:[0,1]
	flat_load_dword v3, v[4:5] offset:4
	s_and_b64 vcc, exec, s[0:1]
	v_mov_b32_e32 v4, s2
	s_cbranch_vccnz .LBB49_4
.LBB49_35:
	v_pk_mov_b32 v[4:5], s[2:3], s[2:3] op_sel:[0,1]
	flat_load_dword v4, v[4:5]
	s_and_b64 vcc, exec, s[0:1]
	v_mov_b32_e32 v5, s3
	s_cbranch_vccz .LBB49_5
	s_branch .LBB49_6
	.section	.rodata,"a",@progbits
	.p2align	6, 0x0
	.amdhsa_kernel _ZN9rocsparseL29bsrmmnt_small_blockdim_kernelILj64ELj8ELj2Eli21rocsparse_complex_numIfES2_S2_S2_EEv20rocsparse_direction_T3_S4_llNS_24const_host_device_scalarIT7_EEPKT2_PKS4_PKT4_PKT5_llS7_PT6_ll16rocsparse_order_21rocsparse_index_base_b
		.amdhsa_group_segment_fixed_size 1792
		.amdhsa_private_segment_fixed_size 0
		.amdhsa_kernarg_size 392
		.amdhsa_user_sgpr_count 6
		.amdhsa_user_sgpr_private_segment_buffer 1
		.amdhsa_user_sgpr_dispatch_ptr 0
		.amdhsa_user_sgpr_queue_ptr 0
		.amdhsa_user_sgpr_kernarg_segment_ptr 1
		.amdhsa_user_sgpr_dispatch_id 0
		.amdhsa_user_sgpr_flat_scratch_init 0
		.amdhsa_user_sgpr_kernarg_preload_length 0
		.amdhsa_user_sgpr_kernarg_preload_offset 0
		.amdhsa_user_sgpr_private_segment_size 0
		.amdhsa_uses_dynamic_stack 0
		.amdhsa_system_sgpr_private_segment_wavefront_offset 0
		.amdhsa_system_sgpr_workgroup_id_x 1
		.amdhsa_system_sgpr_workgroup_id_y 0
		.amdhsa_system_sgpr_workgroup_id_z 0
		.amdhsa_system_sgpr_workgroup_info 0
		.amdhsa_system_vgpr_workitem_id 0
		.amdhsa_next_free_vgpr 52
		.amdhsa_next_free_sgpr 30
		.amdhsa_accum_offset 52
		.amdhsa_reserve_vcc 1
		.amdhsa_reserve_flat_scratch 0
		.amdhsa_float_round_mode_32 0
		.amdhsa_float_round_mode_16_64 0
		.amdhsa_float_denorm_mode_32 3
		.amdhsa_float_denorm_mode_16_64 3
		.amdhsa_dx10_clamp 1
		.amdhsa_ieee_mode 1
		.amdhsa_fp16_overflow 0
		.amdhsa_tg_split 0
		.amdhsa_exception_fp_ieee_invalid_op 0
		.amdhsa_exception_fp_denorm_src 0
		.amdhsa_exception_fp_ieee_div_zero 0
		.amdhsa_exception_fp_ieee_overflow 0
		.amdhsa_exception_fp_ieee_underflow 0
		.amdhsa_exception_fp_ieee_inexact 0
		.amdhsa_exception_int_div_zero 0
	.end_amdhsa_kernel
	.section	.text._ZN9rocsparseL29bsrmmnt_small_blockdim_kernelILj64ELj8ELj2Eli21rocsparse_complex_numIfES2_S2_S2_EEv20rocsparse_direction_T3_S4_llNS_24const_host_device_scalarIT7_EEPKT2_PKS4_PKT4_PKT5_llS7_PT6_ll16rocsparse_order_21rocsparse_index_base_b,"axG",@progbits,_ZN9rocsparseL29bsrmmnt_small_blockdim_kernelILj64ELj8ELj2Eli21rocsparse_complex_numIfES2_S2_S2_EEv20rocsparse_direction_T3_S4_llNS_24const_host_device_scalarIT7_EEPKT2_PKS4_PKT4_PKT5_llS7_PT6_ll16rocsparse_order_21rocsparse_index_base_b,comdat
.Lfunc_end49:
	.size	_ZN9rocsparseL29bsrmmnt_small_blockdim_kernelILj64ELj8ELj2Eli21rocsparse_complex_numIfES2_S2_S2_EEv20rocsparse_direction_T3_S4_llNS_24const_host_device_scalarIT7_EEPKT2_PKS4_PKT4_PKT5_llS7_PT6_ll16rocsparse_order_21rocsparse_index_base_b, .Lfunc_end49-_ZN9rocsparseL29bsrmmnt_small_blockdim_kernelILj64ELj8ELj2Eli21rocsparse_complex_numIfES2_S2_S2_EEv20rocsparse_direction_T3_S4_llNS_24const_host_device_scalarIT7_EEPKT2_PKS4_PKT4_PKT5_llS7_PT6_ll16rocsparse_order_21rocsparse_index_base_b
                                        ; -- End function
	.section	.AMDGPU.csdata,"",@progbits
; Kernel info:
; codeLenInByte = 1804
; NumSgprs: 34
; NumVgprs: 52
; NumAgprs: 0
; TotalNumVgprs: 52
; ScratchSize: 0
; MemoryBound: 0
; FloatMode: 240
; IeeeMode: 1
; LDSByteSize: 1792 bytes/workgroup (compile time only)
; SGPRBlocks: 4
; VGPRBlocks: 6
; NumSGPRsForWavesPerEU: 34
; NumVGPRsForWavesPerEU: 52
; AccumOffset: 52
; Occupancy: 8
; WaveLimiterHint : 1
; COMPUTE_PGM_RSRC2:SCRATCH_EN: 0
; COMPUTE_PGM_RSRC2:USER_SGPR: 6
; COMPUTE_PGM_RSRC2:TRAP_HANDLER: 0
; COMPUTE_PGM_RSRC2:TGID_X_EN: 1
; COMPUTE_PGM_RSRC2:TGID_Y_EN: 0
; COMPUTE_PGM_RSRC2:TGID_Z_EN: 0
; COMPUTE_PGM_RSRC2:TIDIG_COMP_CNT: 0
; COMPUTE_PGM_RSRC3_GFX90A:ACCUM_OFFSET: 12
; COMPUTE_PGM_RSRC3_GFX90A:TG_SPLIT: 0
	.section	.text._ZN9rocsparseL29bsrmmnt_small_blockdim_kernelILj64ELj16ELj2Eli21rocsparse_complex_numIfES2_S2_S2_EEv20rocsparse_direction_T3_S4_llNS_24const_host_device_scalarIT7_EEPKT2_PKS4_PKT4_PKT5_llS7_PT6_ll16rocsparse_order_21rocsparse_index_base_b,"axG",@progbits,_ZN9rocsparseL29bsrmmnt_small_blockdim_kernelILj64ELj16ELj2Eli21rocsparse_complex_numIfES2_S2_S2_EEv20rocsparse_direction_T3_S4_llNS_24const_host_device_scalarIT7_EEPKT2_PKS4_PKT4_PKT5_llS7_PT6_ll16rocsparse_order_21rocsparse_index_base_b,comdat
	.globl	_ZN9rocsparseL29bsrmmnt_small_blockdim_kernelILj64ELj16ELj2Eli21rocsparse_complex_numIfES2_S2_S2_EEv20rocsparse_direction_T3_S4_llNS_24const_host_device_scalarIT7_EEPKT2_PKS4_PKT4_PKT5_llS7_PT6_ll16rocsparse_order_21rocsparse_index_base_b ; -- Begin function _ZN9rocsparseL29bsrmmnt_small_blockdim_kernelILj64ELj16ELj2Eli21rocsparse_complex_numIfES2_S2_S2_EEv20rocsparse_direction_T3_S4_llNS_24const_host_device_scalarIT7_EEPKT2_PKS4_PKT4_PKT5_llS7_PT6_ll16rocsparse_order_21rocsparse_index_base_b
	.p2align	8
	.type	_ZN9rocsparseL29bsrmmnt_small_blockdim_kernelILj64ELj16ELj2Eli21rocsparse_complex_numIfES2_S2_S2_EEv20rocsparse_direction_T3_S4_llNS_24const_host_device_scalarIT7_EEPKT2_PKS4_PKT4_PKT5_llS7_PT6_ll16rocsparse_order_21rocsparse_index_base_b,@function
_ZN9rocsparseL29bsrmmnt_small_blockdim_kernelILj64ELj16ELj2Eli21rocsparse_complex_numIfES2_S2_S2_EEv20rocsparse_direction_T3_S4_llNS_24const_host_device_scalarIT7_EEPKT2_PKS4_PKT4_PKT5_llS7_PT6_ll16rocsparse_order_21rocsparse_index_base_b: ; @_ZN9rocsparseL29bsrmmnt_small_blockdim_kernelILj64ELj16ELj2Eli21rocsparse_complex_numIfES2_S2_S2_EEv20rocsparse_direction_T3_S4_llNS_24const_host_device_scalarIT7_EEPKT2_PKS4_PKT4_PKT5_llS7_PT6_ll16rocsparse_order_21rocsparse_index_base_b
; %bb.0:
	s_load_dwordx4 s[16:19], s[4:5], 0x78
	s_load_dwordx2 s[8:9], s[4:5], 0x20
	s_load_dwordx2 s[2:3], s[4:5], 0x58
	s_waitcnt lgkmcnt(0)
	s_bitcmp1_b32 s18, 0
	s_cselect_b64 s[0:1], -1, 0
	s_xor_b64 s[10:11], s[0:1], -1
	s_and_b64 vcc, exec, s[0:1]
	v_mov_b32_e32 v2, s8
	s_cbranch_vccnz .LBB50_2
; %bb.1:
	v_pk_mov_b32 v[2:3], s[8:9], s[8:9] op_sel:[0,1]
	flat_load_dword v2, v[2:3]
.LBB50_2:
	v_cndmask_b32_e64 v1, 0, 1, s[10:11]
	v_cmp_ne_u32_e64 s[0:1], 1, v1
	s_andn2_b64 vcc, exec, s[10:11]
	v_mov_b32_e32 v3, s9
	s_cbranch_vccz .LBB50_34
; %bb.3:
	s_and_b64 vcc, exec, s[0:1]
	v_mov_b32_e32 v4, s2
	s_cbranch_vccz .LBB50_35
.LBB50_4:
	s_and_b64 vcc, exec, s[0:1]
	v_mov_b32_e32 v5, s3
	s_cbranch_vccnz .LBB50_6
.LBB50_5:
	v_pk_mov_b32 v[6:7], s[2:3], s[2:3] op_sel:[0,1]
	flat_load_dword v5, v[6:7] offset:4
.LBB50_6:
	s_waitcnt vmcnt(0) lgkmcnt(0)
	v_and_b32_e32 v1, 0x7fffffff, v2
	v_cmp_eq_u32_e32 vcc, 0, v1
	v_cmp_eq_f32_e64 s[0:1], 0, v3
	s_and_b64 s[8:9], vcc, s[0:1]
	s_mov_b64 s[0:1], -1
	s_and_saveexec_b64 s[2:3], s[8:9]
; %bb.7:
	v_and_b32_e32 v1, 0x7fffffff, v5
	v_cmp_neq_f32_e32 vcc, 1.0, v4
	v_cmp_ne_u32_e64 s[0:1], 0, v1
	s_or_b64 s[0:1], vcc, s[0:1]
	s_orn2_b64 s[0:1], s[0:1], exec
; %bb.8:
	s_or_b64 exec, exec, s[2:3]
	s_and_saveexec_b64 s[2:3], s[0:1]
	s_cbranch_execz .LBB50_33
; %bb.9:
	s_load_dword s0, s[4:5], 0x94
	s_load_dwordx4 s[20:23], s[4:5], 0x0
	s_waitcnt lgkmcnt(0)
	s_and_b32 s0, s0, 0xffff
	s_mul_i32 s6, s6, s0
	v_add_u32_e32 v1, s6, v0
	v_lshrrev_b32_e32 v6, 5, v1
	v_cmp_gt_i32_e32 vcc, s21, v6
	s_and_b64 exec, exec, vcc
	s_cbranch_execz .LBB50_33
; %bb.10:
	s_cmp_lt_i32 s22, 1
	s_cbranch_scc1 .LBB50_33
; %bb.11:
	s_load_dwordx8 s[8:15], s[4:5], 0x28
	v_lshlrev_b32_e32 v6, 3, v6
	v_and_b32_e32 v11, 0x7fffffff, v4
	v_cmp_neq_f32_e32 vcc, 0, v5
	v_cmp_ne_u32_e64 s[0:1], 0, v11
	s_waitcnt lgkmcnt(0)
	global_load_dwordx4 v[16:19], v6, s[8:9]
	s_load_dwordx4 s[24:27], s[4:5], 0x60
	s_load_dwordx2 s[8:9], s[4:5], 0x48
	v_and_b32_e32 v6, 15, v0
	v_mul_u32_u24_e32 v13, 3, v6
	s_or_b64 s[4:5], s[0:1], vcc
	v_lshrrev_b32_e32 v15, 4, v1
	v_lshrrev_b32_e32 v12, 4, v0
	v_mov_b32_e32 v7, 0x600
	s_movk_i32 s2, 0x180
	v_lshlrev_b32_e32 v13, 3, v13
	s_cmp_lg_u32 s16, 1
	v_lshl_or_b32 v7, v12, 6, v7
	v_mul_u32_u24_e32 v11, 0x180, v12
	v_mad_u32_u24 v29, v12, s2, v13
	s_cselect_b64 s[18:19], -1, 0
	s_cmp_eq_u32 s20, 0
	s_waitcnt lgkmcnt(0)
	v_mad_u64_u32 v[12:13], s[0:1], v15, s26, 0
	s_cselect_b64 s[0:1], -1, 0
	v_mov_b32_e32 v14, v13
	v_lshlrev_b32_e32 v20, 3, v15
	v_cndmask_b32_e64 v22, 0, 1, s[0:1]
	s_and_b64 s[0:1], s[0:1], exec
	v_mad_u64_u32 v[14:15], s[0:1], v15, s27, v[14:15]
	v_mov_b32_e32 v21, s25
	v_add_co_u32_e32 v30, vcc, s24, v20
	v_mov_b32_e32 v13, v14
	v_addc_co_u32_e32 v31, vcc, 0, v21, vcc
	v_lshlrev_b64 v[12:13], 3, v[12:13]
	v_add_co_u32_e32 v32, vcc, s24, v12
	v_addc_co_u32_e32 v33, vcc, v21, v13, vcc
	v_bfe_u32 v10, v1, 4, 1
	s_mov_b32 s6, 0
	v_xor_b32_e32 v0, 0x80000000, v3
	v_xor_b32_e32 v8, 0x80000000, v5
	v_mov_b32_e32 v1, v2
	v_mov_b32_e32 v9, v4
	v_lshl_or_b32 v28, v6, 2, v7
	v_lshlrev_b32_e32 v10, v22, v10
	s_cselect_b32 s16, 1, 2
	s_mov_b32 s23, 0
	s_waitcnt vmcnt(0)
	v_subrev_co_u32_e32 v12, vcc, s17, v16
	v_subbrev_co_u32_e32 v13, vcc, 0, v17, vcc
	v_subrev_co_u32_e32 v14, vcc, s17, v18
	v_subbrev_co_u32_e32 v15, vcc, 0, v19, vcc
	v_cmp_lt_i64_e64 s[0:1], v[16:17], v[18:19]
	s_branch .LBB50_13
.LBB50_12:                              ;   in Loop: Header=BB50_13 Depth=1
	s_or_b64 exec, exec, s[2:3]
	s_add_i32 s23, s23, 16
	s_cmp_lt_i32 s23, s22
	s_cbranch_scc0 .LBB50_33
.LBB50_13:                              ; =>This Loop Header: Depth=1
                                        ;     Child Loop BB50_16 Depth 2
                                        ;       Child Loop BB50_20 Depth 3
	v_or_b32_e32 v16, s23, v6
	s_mov_b32 s7, s6
	v_pk_mov_b32 v[18:19], s[6:7], s[6:7] op_sel:[0,1]
	v_ashrrev_i32_e32 v17, 31, v16
	s_and_saveexec_b64 s[20:21], s[0:1]
	s_cbranch_execz .LBB50_22
; %bb.14:                               ;   in Loop: Header=BB50_13 Depth=1
	v_lshlrev_b64 v[18:19], 3, v[16:17]
	v_mov_b32_e32 v20, s15
	v_add_co_u32_e64 v34, s[2:3], s14, v18
	v_cmp_gt_i32_e32 vcc, s22, v16
	v_addc_co_u32_e64 v35, s[2:3], v20, v19, s[2:3]
	s_mov_b64 s[24:25], 0
	v_pk_mov_b32 v[18:19], s[6:7], s[6:7] op_sel:[0,1]
	v_pk_mov_b32 v[20:21], v[12:13], v[12:13] op_sel:[0,1]
	s_branch .LBB50_16
.LBB50_15:                              ;   in Loop: Header=BB50_16 Depth=2
	s_or_b64 exec, exec, s[28:29]
	v_add_co_u32_e64 v20, s[2:3], 16, v20
	v_addc_co_u32_e64 v21, s[2:3], 0, v21, s[2:3]
	v_cmp_ge_i64_e64 s[2:3], v[20:21], v[14:15]
	s_or_b64 s[24:25], s[2:3], s[24:25]
	s_andn2_b64 exec, exec, s[24:25]
	s_cbranch_execz .LBB50_21
.LBB50_16:                              ;   Parent Loop BB50_13 Depth=1
                                        ; =>  This Loop Header: Depth=2
                                        ;       Child Loop BB50_20 Depth 3
	v_add_co_u32_e64 v26, s[2:3], v20, v6
	v_addc_co_u32_e64 v27, s[2:3], 0, v21, s[2:3]
	v_cmp_lt_i64_e64 s[2:3], v[26:27], v[14:15]
	v_mov_b32_e32 v36, 0
	v_mov_b32_e32 v22, 0
	;; [unrolled: 1-line block ×5, first 2 shown]
	s_and_saveexec_b64 s[28:29], s[2:3]
	s_cbranch_execz .LBB50_18
; %bb.17:                               ;   in Loop: Header=BB50_16 Depth=2
	v_lshlrev_b64 v[22:23], 2, v[26:27]
	v_mov_b32_e32 v25, s11
	v_add_co_u32_e64 v24, s[2:3], s10, v22
	v_addc_co_u32_e64 v25, s[2:3], v25, v23, s[2:3]
	v_or_b32_e32 v23, 0, v23
	v_or_b32_e32 v22, v22, v10
	global_load_dword v38, v[24:25], off
	v_lshlrev_b64 v[24:25], 3, v[22:23]
	v_mov_b32_e32 v37, s13
	v_add_co_u32_e64 v26, s[2:3], s12, v24
	v_or_b32_e32 v23, 0, v23
	v_or_b32_e32 v22, s16, v22
	v_addc_co_u32_e64 v27, s[2:3], v37, v25, s[2:3]
	v_lshlrev_b64 v[22:23], 3, v[22:23]
	v_add_co_u32_e64 v36, s[2:3], s12, v22
	v_addc_co_u32_e64 v37, s[2:3], v37, v23, s[2:3]
	global_load_dwordx2 v[22:23], v[26:27], off
	global_load_dwordx2 v[24:25], v[36:37], off
	s_waitcnt vmcnt(2)
	v_subrev_u32_e32 v26, s17, v38
	v_lshlrev_b32_e32 v36, 1, v26
.LBB50_18:                              ;   in Loop: Header=BB50_16 Depth=2
	s_or_b64 exec, exec, s[28:29]
	ds_write_b32 v28, v36
	s_waitcnt vmcnt(0)
	ds_write2_b64 v29, v[22:23], v[24:25] offset1:1
	s_waitcnt lgkmcnt(0)
	; wave barrier
	s_waitcnt lgkmcnt(0)
	s_and_saveexec_b64 s[28:29], vcc
	s_cbranch_execz .LBB50_15
; %bb.19:                               ;   in Loop: Header=BB50_16 Depth=2
	s_mov_b32 s7, 0
	v_mov_b32_e32 v22, v11
.LBB50_20:                              ;   Parent Loop BB50_13 Depth=1
                                        ;     Parent Loop BB50_16 Depth=2
                                        ; =>    This Inner Loop Header: Depth=3
	v_add_u32_e32 v23, s7, v7
	ds_read_b64 v[24:25], v23
	s_add_i32 s7, s7, 8
	s_cmp_lg_u32 s7, 64
	s_waitcnt lgkmcnt(0)
	v_ashrrev_i32_e32 v23, 31, v24
	v_mul_lo_u32 v40, v24, s9
	v_mad_u64_u32 v[26:27], s[2:3], v24, s8, 0
	v_mul_lo_u32 v23, v23, s8
	v_add_u32_e32 v24, 1, v24
	v_ashrrev_i32_e32 v38, 31, v25
	v_add_u32_e32 v39, 1, v25
	v_add3_u32 v27, v27, v40, v23
	v_mul_lo_u32 v41, v25, s9
	v_mad_u64_u32 v[36:37], s[2:3], v25, s8, 0
	v_ashrrev_i32_e32 v42, 31, v24
	v_mul_lo_u32 v43, v24, s9
	v_mad_u64_u32 v[24:25], s[2:3], v24, s8, 0
	v_mul_lo_u32 v44, v38, s8
	v_ashrrev_i32_e32 v45, 31, v39
	v_mul_lo_u32 v46, v39, s9
	v_mad_u64_u32 v[38:39], s[2:3], v39, s8, 0
	v_lshlrev_b64 v[26:27], 3, v[26:27]
	v_add3_u32 v37, v37, v41, v44
	v_add_co_u32_e64 v26, s[2:3], v34, v26
	v_mul_lo_u32 v23, v42, s8
	v_lshlrev_b64 v[36:37], 3, v[36:37]
	v_addc_co_u32_e64 v27, s[2:3], v35, v27, s[2:3]
	v_mul_lo_u32 v40, v45, s8
	v_add3_u32 v25, v25, v43, v23
	v_add_co_u32_e64 v36, s[2:3], v34, v36
	v_add3_u32 v39, v39, v46, v40
	v_lshlrev_b64 v[24:25], 3, v[24:25]
	v_addc_co_u32_e64 v37, s[2:3], v35, v37, s[2:3]
	global_load_dwordx2 v[40:41], v[26:27], off
	v_add_co_u32_e64 v24, s[2:3], v34, v24
	v_addc_co_u32_e64 v25, s[2:3], v35, v25, s[2:3]
	v_lshlrev_b64 v[38:39], 3, v[38:39]
	global_load_dwordx2 v[42:43], v[24:25], off
	global_load_dwordx2 v[44:45], v[36:37], off
	v_add_co_u32_e64 v26, s[2:3], v34, v38
	v_addc_co_u32_e64 v27, s[2:3], v35, v39, s[2:3]
	global_load_dwordx2 v[46:47], v[26:27], off
	ds_read_b128 v[24:27], v22
	ds_read2_b64 v[36:39], v22 offset0:3 offset1:4
	v_add_u32_e32 v22, 48, v22
	s_waitcnt lgkmcnt(1)
	v_xor_b32_e32 v48, 0x80000000, v27
	v_mov_b32_e32 v49, v26
	s_waitcnt lgkmcnt(0)
	v_xor_b32_e32 v50, 0x80000000, v39
	v_mov_b32_e32 v51, v38
	s_waitcnt vmcnt(3)
	v_pk_fma_f32 v[18:19], v[24:25], v[40:41], v[18:19] op_sel_hi:[1,0,1]
	v_pk_fma_f32 v[18:19], v[24:25], v[40:41], v[18:19] op_sel:[1,1,0] op_sel_hi:[0,1,1] neg_lo:[1,0,0]
	s_waitcnt vmcnt(2)
	v_pk_fma_f32 v[18:19], v[26:27], v[42:43], v[18:19] op_sel_hi:[1,0,1]
	v_pk_fma_f32 v[18:19], v[48:49], v[42:43], v[18:19] op_sel:[0,1,0]
	s_waitcnt vmcnt(1)
	v_pk_fma_f32 v[18:19], v[36:37], v[44:45], v[18:19] op_sel_hi:[1,0,1]
	v_pk_fma_f32 v[18:19], v[36:37], v[44:45], v[18:19] op_sel:[1,1,0] op_sel_hi:[0,1,1] neg_lo:[1,0,0]
	s_waitcnt vmcnt(0)
	v_pk_fma_f32 v[18:19], v[38:39], v[46:47], v[18:19] op_sel_hi:[1,0,1]
	v_pk_fma_f32 v[18:19], v[50:51], v[46:47], v[18:19] op_sel:[0,1,0]
	s_cbranch_scc1 .LBB50_20
	s_branch .LBB50_15
.LBB50_21:                              ;   in Loop: Header=BB50_13 Depth=1
	s_or_b64 exec, exec, s[24:25]
.LBB50_22:                              ;   in Loop: Header=BB50_13 Depth=1
	s_or_b64 exec, exec, s[20:21]
	v_cmp_gt_i32_e32 vcc, s22, v16
	s_and_saveexec_b64 s[2:3], vcc
	s_cbranch_execz .LBB50_12
; %bb.23:                               ;   in Loop: Header=BB50_13 Depth=1
	s_and_saveexec_b64 s[20:21], s[4:5]
	s_xor_b64 s[20:21], exec, s[20:21]
	s_cbranch_execz .LBB50_28
; %bb.24:                               ;   in Loop: Header=BB50_13 Depth=1
	s_mov_b64 s[24:25], -1
	s_and_b64 vcc, exec, s[18:19]
	s_cbranch_vccz .LBB50_26
; %bb.25:                               ;   in Loop: Header=BB50_13 Depth=1
	v_lshlrev_b64 v[20:21], 3, v[16:17]
	v_add_co_u32_e32 v20, vcc, v32, v20
	v_addc_co_u32_e32 v21, vcc, v33, v21, vcc
	global_load_dwordx2 v[22:23], v[20:21], off
	v_pk_mul_f32 v[24:25], v[18:19], v[0:1] op_sel:[1,0]
	v_pk_fma_f32 v[24:25], v[2:3], v[18:19], v[24:25] op_sel_hi:[1,0,1]
	s_mov_b64 s[24:25], 0
	s_waitcnt vmcnt(0)
	v_pk_fma_f32 v[24:25], v[4:5], v[22:23], v[24:25] op_sel_hi:[1,0,1]
	v_pk_fma_f32 v[22:23], v[8:9], v[22:23], v[24:25] op_sel:[0,1,0]
	global_store_dwordx2 v[20:21], v[22:23], off
.LBB50_26:                              ;   in Loop: Header=BB50_13 Depth=1
	s_andn2_b64 vcc, exec, s[24:25]
	s_cbranch_vccnz .LBB50_28
; %bb.27:                               ;   in Loop: Header=BB50_13 Depth=1
	v_mul_lo_u32 v20, v17, s26
	v_mul_lo_u32 v21, v16, s27
	v_mad_u64_u32 v[16:17], s[24:25], v16, s26, 0
	v_add3_u32 v17, v17, v21, v20
	v_lshlrev_b64 v[16:17], 3, v[16:17]
	v_add_co_u32_e32 v16, vcc, v30, v16
	v_addc_co_u32_e32 v17, vcc, v31, v17, vcc
	global_load_dwordx2 v[20:21], v[16:17], off
	v_pk_mul_f32 v[22:23], v[18:19], v[0:1] op_sel:[1,0]
	v_pk_fma_f32 v[18:19], v[2:3], v[18:19], v[22:23] op_sel_hi:[1,0,1]
	s_waitcnt vmcnt(0)
	v_pk_fma_f32 v[18:19], v[4:5], v[20:21], v[18:19] op_sel_hi:[1,0,1]
	v_pk_fma_f32 v[18:19], v[8:9], v[20:21], v[18:19] op_sel:[0,1,0]
	global_store_dwordx2 v[16:17], v[18:19], off
                                        ; implicit-def: $vgpr18_vgpr19
                                        ; implicit-def: $vgpr16
.LBB50_28:                              ;   in Loop: Header=BB50_13 Depth=1
	s_andn2_saveexec_b64 s[20:21], s[20:21]
	s_cbranch_execz .LBB50_12
; %bb.29:                               ;   in Loop: Header=BB50_13 Depth=1
	v_pk_mul_f32 v[20:21], v[18:19], v[0:1] op_sel:[1,0]
	v_pk_fma_f32 v[18:19], v[2:3], v[18:19], v[20:21] op_sel_hi:[1,0,1]
	s_mov_b64 s[20:21], -1
	s_and_b64 vcc, exec, s[18:19]
	s_cbranch_vccz .LBB50_31
; %bb.30:                               ;   in Loop: Header=BB50_13 Depth=1
	v_lshlrev_b64 v[20:21], 3, v[16:17]
	v_add_co_u32_e32 v20, vcc, v32, v20
	v_addc_co_u32_e32 v21, vcc, v33, v21, vcc
	global_store_dwordx2 v[20:21], v[18:19], off
	s_mov_b64 s[20:21], 0
.LBB50_31:                              ;   in Loop: Header=BB50_13 Depth=1
	s_andn2_b64 vcc, exec, s[20:21]
	s_cbranch_vccnz .LBB50_12
; %bb.32:                               ;   in Loop: Header=BB50_13 Depth=1
	v_mul_lo_u32 v20, v17, s26
	v_mul_lo_u32 v21, v16, s27
	v_mad_u64_u32 v[16:17], s[20:21], v16, s26, 0
	v_add3_u32 v17, v17, v21, v20
	v_lshlrev_b64 v[16:17], 3, v[16:17]
	v_add_co_u32_e32 v16, vcc, v30, v16
	v_addc_co_u32_e32 v17, vcc, v31, v17, vcc
	global_store_dwordx2 v[16:17], v[18:19], off
	s_branch .LBB50_12
.LBB50_33:
	s_endpgm
.LBB50_34:
	v_pk_mov_b32 v[4:5], s[8:9], s[8:9] op_sel:[0,1]
	flat_load_dword v3, v[4:5] offset:4
	s_and_b64 vcc, exec, s[0:1]
	v_mov_b32_e32 v4, s2
	s_cbranch_vccnz .LBB50_4
.LBB50_35:
	v_pk_mov_b32 v[4:5], s[2:3], s[2:3] op_sel:[0,1]
	flat_load_dword v4, v[4:5]
	s_and_b64 vcc, exec, s[0:1]
	v_mov_b32_e32 v5, s3
	s_cbranch_vccz .LBB50_5
	s_branch .LBB50_6
	.section	.rodata,"a",@progbits
	.p2align	6, 0x0
	.amdhsa_kernel _ZN9rocsparseL29bsrmmnt_small_blockdim_kernelILj64ELj16ELj2Eli21rocsparse_complex_numIfES2_S2_S2_EEv20rocsparse_direction_T3_S4_llNS_24const_host_device_scalarIT7_EEPKT2_PKS4_PKT4_PKT5_llS7_PT6_ll16rocsparse_order_21rocsparse_index_base_b
		.amdhsa_group_segment_fixed_size 1792
		.amdhsa_private_segment_fixed_size 0
		.amdhsa_kernarg_size 392
		.amdhsa_user_sgpr_count 6
		.amdhsa_user_sgpr_private_segment_buffer 1
		.amdhsa_user_sgpr_dispatch_ptr 0
		.amdhsa_user_sgpr_queue_ptr 0
		.amdhsa_user_sgpr_kernarg_segment_ptr 1
		.amdhsa_user_sgpr_dispatch_id 0
		.amdhsa_user_sgpr_flat_scratch_init 0
		.amdhsa_user_sgpr_kernarg_preload_length 0
		.amdhsa_user_sgpr_kernarg_preload_offset 0
		.amdhsa_user_sgpr_private_segment_size 0
		.amdhsa_uses_dynamic_stack 0
		.amdhsa_system_sgpr_private_segment_wavefront_offset 0
		.amdhsa_system_sgpr_workgroup_id_x 1
		.amdhsa_system_sgpr_workgroup_id_y 0
		.amdhsa_system_sgpr_workgroup_id_z 0
		.amdhsa_system_sgpr_workgroup_info 0
		.amdhsa_system_vgpr_workitem_id 0
		.amdhsa_next_free_vgpr 52
		.amdhsa_next_free_sgpr 30
		.amdhsa_accum_offset 52
		.amdhsa_reserve_vcc 1
		.amdhsa_reserve_flat_scratch 0
		.amdhsa_float_round_mode_32 0
		.amdhsa_float_round_mode_16_64 0
		.amdhsa_float_denorm_mode_32 3
		.amdhsa_float_denorm_mode_16_64 3
		.amdhsa_dx10_clamp 1
		.amdhsa_ieee_mode 1
		.amdhsa_fp16_overflow 0
		.amdhsa_tg_split 0
		.amdhsa_exception_fp_ieee_invalid_op 0
		.amdhsa_exception_fp_denorm_src 0
		.amdhsa_exception_fp_ieee_div_zero 0
		.amdhsa_exception_fp_ieee_overflow 0
		.amdhsa_exception_fp_ieee_underflow 0
		.amdhsa_exception_fp_ieee_inexact 0
		.amdhsa_exception_int_div_zero 0
	.end_amdhsa_kernel
	.section	.text._ZN9rocsparseL29bsrmmnt_small_blockdim_kernelILj64ELj16ELj2Eli21rocsparse_complex_numIfES2_S2_S2_EEv20rocsparse_direction_T3_S4_llNS_24const_host_device_scalarIT7_EEPKT2_PKS4_PKT4_PKT5_llS7_PT6_ll16rocsparse_order_21rocsparse_index_base_b,"axG",@progbits,_ZN9rocsparseL29bsrmmnt_small_blockdim_kernelILj64ELj16ELj2Eli21rocsparse_complex_numIfES2_S2_S2_EEv20rocsparse_direction_T3_S4_llNS_24const_host_device_scalarIT7_EEPKT2_PKS4_PKT4_PKT5_llS7_PT6_ll16rocsparse_order_21rocsparse_index_base_b,comdat
.Lfunc_end50:
	.size	_ZN9rocsparseL29bsrmmnt_small_blockdim_kernelILj64ELj16ELj2Eli21rocsparse_complex_numIfES2_S2_S2_EEv20rocsparse_direction_T3_S4_llNS_24const_host_device_scalarIT7_EEPKT2_PKS4_PKT4_PKT5_llS7_PT6_ll16rocsparse_order_21rocsparse_index_base_b, .Lfunc_end50-_ZN9rocsparseL29bsrmmnt_small_blockdim_kernelILj64ELj16ELj2Eli21rocsparse_complex_numIfES2_S2_S2_EEv20rocsparse_direction_T3_S4_llNS_24const_host_device_scalarIT7_EEPKT2_PKS4_PKT4_PKT5_llS7_PT6_ll16rocsparse_order_21rocsparse_index_base_b
                                        ; -- End function
	.section	.AMDGPU.csdata,"",@progbits
; Kernel info:
; codeLenInByte = 1804
; NumSgprs: 34
; NumVgprs: 52
; NumAgprs: 0
; TotalNumVgprs: 52
; ScratchSize: 0
; MemoryBound: 0
; FloatMode: 240
; IeeeMode: 1
; LDSByteSize: 1792 bytes/workgroup (compile time only)
; SGPRBlocks: 4
; VGPRBlocks: 6
; NumSGPRsForWavesPerEU: 34
; NumVGPRsForWavesPerEU: 52
; AccumOffset: 52
; Occupancy: 8
; WaveLimiterHint : 1
; COMPUTE_PGM_RSRC2:SCRATCH_EN: 0
; COMPUTE_PGM_RSRC2:USER_SGPR: 6
; COMPUTE_PGM_RSRC2:TRAP_HANDLER: 0
; COMPUTE_PGM_RSRC2:TGID_X_EN: 1
; COMPUTE_PGM_RSRC2:TGID_Y_EN: 0
; COMPUTE_PGM_RSRC2:TGID_Z_EN: 0
; COMPUTE_PGM_RSRC2:TIDIG_COMP_CNT: 0
; COMPUTE_PGM_RSRC3_GFX90A:ACCUM_OFFSET: 12
; COMPUTE_PGM_RSRC3_GFX90A:TG_SPLIT: 0
	.section	.text._ZN9rocsparseL29bsrmmnt_small_blockdim_kernelILj64ELj32ELj2Eli21rocsparse_complex_numIfES2_S2_S2_EEv20rocsparse_direction_T3_S4_llNS_24const_host_device_scalarIT7_EEPKT2_PKS4_PKT4_PKT5_llS7_PT6_ll16rocsparse_order_21rocsparse_index_base_b,"axG",@progbits,_ZN9rocsparseL29bsrmmnt_small_blockdim_kernelILj64ELj32ELj2Eli21rocsparse_complex_numIfES2_S2_S2_EEv20rocsparse_direction_T3_S4_llNS_24const_host_device_scalarIT7_EEPKT2_PKS4_PKT4_PKT5_llS7_PT6_ll16rocsparse_order_21rocsparse_index_base_b,comdat
	.globl	_ZN9rocsparseL29bsrmmnt_small_blockdim_kernelILj64ELj32ELj2Eli21rocsparse_complex_numIfES2_S2_S2_EEv20rocsparse_direction_T3_S4_llNS_24const_host_device_scalarIT7_EEPKT2_PKS4_PKT4_PKT5_llS7_PT6_ll16rocsparse_order_21rocsparse_index_base_b ; -- Begin function _ZN9rocsparseL29bsrmmnt_small_blockdim_kernelILj64ELj32ELj2Eli21rocsparse_complex_numIfES2_S2_S2_EEv20rocsparse_direction_T3_S4_llNS_24const_host_device_scalarIT7_EEPKT2_PKS4_PKT4_PKT5_llS7_PT6_ll16rocsparse_order_21rocsparse_index_base_b
	.p2align	8
	.type	_ZN9rocsparseL29bsrmmnt_small_blockdim_kernelILj64ELj32ELj2Eli21rocsparse_complex_numIfES2_S2_S2_EEv20rocsparse_direction_T3_S4_llNS_24const_host_device_scalarIT7_EEPKT2_PKS4_PKT4_PKT5_llS7_PT6_ll16rocsparse_order_21rocsparse_index_base_b,@function
_ZN9rocsparseL29bsrmmnt_small_blockdim_kernelILj64ELj32ELj2Eli21rocsparse_complex_numIfES2_S2_S2_EEv20rocsparse_direction_T3_S4_llNS_24const_host_device_scalarIT7_EEPKT2_PKS4_PKT4_PKT5_llS7_PT6_ll16rocsparse_order_21rocsparse_index_base_b: ; @_ZN9rocsparseL29bsrmmnt_small_blockdim_kernelILj64ELj32ELj2Eli21rocsparse_complex_numIfES2_S2_S2_EEv20rocsparse_direction_T3_S4_llNS_24const_host_device_scalarIT7_EEPKT2_PKS4_PKT4_PKT5_llS7_PT6_ll16rocsparse_order_21rocsparse_index_base_b
; %bb.0:
	s_load_dwordx4 s[16:19], s[4:5], 0x78
	s_load_dwordx2 s[8:9], s[4:5], 0x20
	s_load_dwordx2 s[2:3], s[4:5], 0x58
	s_waitcnt lgkmcnt(0)
	s_bitcmp1_b32 s18, 0
	s_cselect_b64 s[0:1], -1, 0
	s_xor_b64 s[10:11], s[0:1], -1
	s_and_b64 vcc, exec, s[0:1]
	v_mov_b32_e32 v2, s8
	s_cbranch_vccnz .LBB51_2
; %bb.1:
	v_pk_mov_b32 v[2:3], s[8:9], s[8:9] op_sel:[0,1]
	flat_load_dword v2, v[2:3]
.LBB51_2:
	v_cndmask_b32_e64 v1, 0, 1, s[10:11]
	v_cmp_ne_u32_e64 s[0:1], 1, v1
	s_andn2_b64 vcc, exec, s[10:11]
	v_mov_b32_e32 v3, s9
	s_cbranch_vccz .LBB51_34
; %bb.3:
	s_and_b64 vcc, exec, s[0:1]
	v_mov_b32_e32 v4, s2
	s_cbranch_vccz .LBB51_35
.LBB51_4:
	s_and_b64 vcc, exec, s[0:1]
	v_mov_b32_e32 v5, s3
	s_cbranch_vccnz .LBB51_6
.LBB51_5:
	v_pk_mov_b32 v[6:7], s[2:3], s[2:3] op_sel:[0,1]
	flat_load_dword v5, v[6:7] offset:4
.LBB51_6:
	s_waitcnt vmcnt(0) lgkmcnt(0)
	v_and_b32_e32 v1, 0x7fffffff, v2
	v_cmp_eq_u32_e32 vcc, 0, v1
	v_cmp_eq_f32_e64 s[0:1], 0, v3
	s_and_b64 s[8:9], vcc, s[0:1]
	s_mov_b64 s[0:1], -1
	s_and_saveexec_b64 s[2:3], s[8:9]
; %bb.7:
	v_and_b32_e32 v1, 0x7fffffff, v5
	v_cmp_neq_f32_e32 vcc, 1.0, v4
	v_cmp_ne_u32_e64 s[0:1], 0, v1
	s_or_b64 s[0:1], vcc, s[0:1]
	s_orn2_b64 s[0:1], s[0:1], exec
; %bb.8:
	s_or_b64 exec, exec, s[2:3]
	s_and_saveexec_b64 s[2:3], s[0:1]
	s_cbranch_execz .LBB51_33
; %bb.9:
	s_load_dword s0, s[4:5], 0x94
	s_load_dwordx4 s[20:23], s[4:5], 0x0
	s_waitcnt lgkmcnt(0)
	s_and_b32 s0, s0, 0xffff
	s_mul_i32 s6, s6, s0
	v_add_u32_e32 v1, s6, v0
	v_lshrrev_b32_e32 v6, 6, v1
	v_cmp_gt_i32_e32 vcc, s21, v6
	s_and_b64 exec, exec, vcc
	s_cbranch_execz .LBB51_33
; %bb.10:
	s_cmp_lt_i32 s22, 1
	s_cbranch_scc1 .LBB51_33
; %bb.11:
	s_load_dwordx8 s[8:15], s[4:5], 0x28
	v_lshlrev_b32_e32 v6, 3, v6
	v_and_b32_e32 v11, 0x7fffffff, v4
	v_cmp_neq_f32_e32 vcc, 0, v5
	v_cmp_ne_u32_e64 s[0:1], 0, v11
	s_waitcnt lgkmcnt(0)
	global_load_dwordx4 v[16:19], v6, s[8:9]
	s_load_dwordx4 s[24:27], s[4:5], 0x60
	s_load_dwordx2 s[8:9], s[4:5], 0x48
	v_and_b32_e32 v6, 31, v0
	v_mul_u32_u24_e32 v13, 3, v6
	s_or_b64 s[4:5], s[0:1], vcc
	v_lshrrev_b32_e32 v15, 5, v1
	v_lshrrev_b32_e32 v12, 5, v0
	v_mov_b32_e32 v7, 0x600
	s_movk_i32 s2, 0x300
	v_lshlrev_b32_e32 v13, 3, v13
	s_cmp_lg_u32 s16, 1
	v_lshl_or_b32 v7, v12, 7, v7
	v_mul_u32_u24_e32 v11, 0x300, v12
	v_mad_u32_u24 v29, v12, s2, v13
	s_cselect_b64 s[18:19], -1, 0
	s_cmp_eq_u32 s20, 0
	s_waitcnt lgkmcnt(0)
	v_mad_u64_u32 v[12:13], s[0:1], v15, s26, 0
	s_cselect_b64 s[0:1], -1, 0
	v_mov_b32_e32 v14, v13
	v_lshlrev_b32_e32 v20, 3, v15
	v_cndmask_b32_e64 v22, 0, 1, s[0:1]
	s_and_b64 s[0:1], s[0:1], exec
	v_mad_u64_u32 v[14:15], s[0:1], v15, s27, v[14:15]
	v_mov_b32_e32 v21, s25
	v_add_co_u32_e32 v30, vcc, s24, v20
	v_mov_b32_e32 v13, v14
	v_addc_co_u32_e32 v31, vcc, 0, v21, vcc
	v_lshlrev_b64 v[12:13], 3, v[12:13]
	v_add_co_u32_e32 v32, vcc, s24, v12
	v_addc_co_u32_e32 v33, vcc, v21, v13, vcc
	v_bfe_u32 v10, v1, 5, 1
	s_mov_b32 s6, 0
	v_xor_b32_e32 v0, 0x80000000, v3
	v_xor_b32_e32 v8, 0x80000000, v5
	v_mov_b32_e32 v1, v2
	v_mov_b32_e32 v9, v4
	v_lshl_or_b32 v28, v6, 2, v7
	v_lshlrev_b32_e32 v10, v22, v10
	s_cselect_b32 s16, 1, 2
	s_mov_b32 s23, 0
	s_waitcnt vmcnt(0)
	v_subrev_co_u32_e32 v12, vcc, s17, v16
	v_subbrev_co_u32_e32 v13, vcc, 0, v17, vcc
	v_subrev_co_u32_e32 v14, vcc, s17, v18
	v_subbrev_co_u32_e32 v15, vcc, 0, v19, vcc
	v_cmp_lt_i64_e64 s[0:1], v[16:17], v[18:19]
	s_branch .LBB51_13
.LBB51_12:                              ;   in Loop: Header=BB51_13 Depth=1
	s_or_b64 exec, exec, s[2:3]
	s_add_i32 s23, s23, 32
	s_cmp_lt_i32 s23, s22
	s_cbranch_scc0 .LBB51_33
.LBB51_13:                              ; =>This Loop Header: Depth=1
                                        ;     Child Loop BB51_16 Depth 2
                                        ;       Child Loop BB51_20 Depth 3
	v_or_b32_e32 v16, s23, v6
	s_mov_b32 s7, s6
	v_pk_mov_b32 v[18:19], s[6:7], s[6:7] op_sel:[0,1]
	v_ashrrev_i32_e32 v17, 31, v16
	s_and_saveexec_b64 s[20:21], s[0:1]
	s_cbranch_execz .LBB51_22
; %bb.14:                               ;   in Loop: Header=BB51_13 Depth=1
	v_lshlrev_b64 v[18:19], 3, v[16:17]
	v_mov_b32_e32 v20, s15
	v_add_co_u32_e64 v34, s[2:3], s14, v18
	v_cmp_gt_i32_e32 vcc, s22, v16
	v_addc_co_u32_e64 v35, s[2:3], v20, v19, s[2:3]
	s_mov_b64 s[24:25], 0
	v_pk_mov_b32 v[18:19], s[6:7], s[6:7] op_sel:[0,1]
	v_pk_mov_b32 v[20:21], v[12:13], v[12:13] op_sel:[0,1]
	s_branch .LBB51_16
.LBB51_15:                              ;   in Loop: Header=BB51_16 Depth=2
	s_or_b64 exec, exec, s[28:29]
	v_add_co_u32_e64 v20, s[2:3], 32, v20
	v_addc_co_u32_e64 v21, s[2:3], 0, v21, s[2:3]
	v_cmp_ge_i64_e64 s[2:3], v[20:21], v[14:15]
	s_or_b64 s[24:25], s[2:3], s[24:25]
	s_andn2_b64 exec, exec, s[24:25]
	s_cbranch_execz .LBB51_21
.LBB51_16:                              ;   Parent Loop BB51_13 Depth=1
                                        ; =>  This Loop Header: Depth=2
                                        ;       Child Loop BB51_20 Depth 3
	v_add_co_u32_e64 v26, s[2:3], v20, v6
	v_addc_co_u32_e64 v27, s[2:3], 0, v21, s[2:3]
	v_cmp_lt_i64_e64 s[2:3], v[26:27], v[14:15]
	v_mov_b32_e32 v36, 0
	v_mov_b32_e32 v22, 0
	;; [unrolled: 1-line block ×5, first 2 shown]
	s_and_saveexec_b64 s[28:29], s[2:3]
	s_cbranch_execz .LBB51_18
; %bb.17:                               ;   in Loop: Header=BB51_16 Depth=2
	v_lshlrev_b64 v[22:23], 2, v[26:27]
	v_mov_b32_e32 v25, s11
	v_add_co_u32_e64 v24, s[2:3], s10, v22
	v_addc_co_u32_e64 v25, s[2:3], v25, v23, s[2:3]
	v_or_b32_e32 v23, 0, v23
	v_or_b32_e32 v22, v22, v10
	global_load_dword v38, v[24:25], off
	v_lshlrev_b64 v[24:25], 3, v[22:23]
	v_mov_b32_e32 v37, s13
	v_add_co_u32_e64 v26, s[2:3], s12, v24
	v_or_b32_e32 v23, 0, v23
	v_or_b32_e32 v22, s16, v22
	v_addc_co_u32_e64 v27, s[2:3], v37, v25, s[2:3]
	v_lshlrev_b64 v[22:23], 3, v[22:23]
	v_add_co_u32_e64 v36, s[2:3], s12, v22
	v_addc_co_u32_e64 v37, s[2:3], v37, v23, s[2:3]
	global_load_dwordx2 v[22:23], v[26:27], off
	global_load_dwordx2 v[24:25], v[36:37], off
	s_waitcnt vmcnt(2)
	v_subrev_u32_e32 v26, s17, v38
	v_lshlrev_b32_e32 v36, 1, v26
.LBB51_18:                              ;   in Loop: Header=BB51_16 Depth=2
	s_or_b64 exec, exec, s[28:29]
	ds_write_b32 v28, v36
	s_waitcnt vmcnt(0)
	ds_write2_b64 v29, v[22:23], v[24:25] offset1:1
	s_waitcnt lgkmcnt(0)
	; wave barrier
	s_waitcnt lgkmcnt(0)
	s_and_saveexec_b64 s[28:29], vcc
	s_cbranch_execz .LBB51_15
; %bb.19:                               ;   in Loop: Header=BB51_16 Depth=2
	s_mov_b32 s7, 0
	v_mov_b32_e32 v22, v11
.LBB51_20:                              ;   Parent Loop BB51_13 Depth=1
                                        ;     Parent Loop BB51_16 Depth=2
                                        ; =>    This Inner Loop Header: Depth=3
	v_add_u32_e32 v23, s7, v7
	ds_read_b64 v[24:25], v23
	s_add_i32 s7, s7, 8
	s_cmpk_lg_i32 s7, 0x80
	s_waitcnt lgkmcnt(0)
	v_ashrrev_i32_e32 v23, 31, v24
	v_mul_lo_u32 v40, v24, s9
	v_mad_u64_u32 v[26:27], s[2:3], v24, s8, 0
	v_mul_lo_u32 v23, v23, s8
	v_add_u32_e32 v24, 1, v24
	v_ashrrev_i32_e32 v38, 31, v25
	v_add_u32_e32 v39, 1, v25
	v_add3_u32 v27, v27, v40, v23
	v_mul_lo_u32 v41, v25, s9
	v_mad_u64_u32 v[36:37], s[2:3], v25, s8, 0
	v_ashrrev_i32_e32 v42, 31, v24
	v_mul_lo_u32 v43, v24, s9
	v_mad_u64_u32 v[24:25], s[2:3], v24, s8, 0
	v_mul_lo_u32 v44, v38, s8
	v_ashrrev_i32_e32 v45, 31, v39
	v_mul_lo_u32 v46, v39, s9
	v_mad_u64_u32 v[38:39], s[2:3], v39, s8, 0
	v_lshlrev_b64 v[26:27], 3, v[26:27]
	v_add3_u32 v37, v37, v41, v44
	v_add_co_u32_e64 v26, s[2:3], v34, v26
	v_mul_lo_u32 v23, v42, s8
	v_lshlrev_b64 v[36:37], 3, v[36:37]
	v_addc_co_u32_e64 v27, s[2:3], v35, v27, s[2:3]
	v_mul_lo_u32 v40, v45, s8
	v_add3_u32 v25, v25, v43, v23
	v_add_co_u32_e64 v36, s[2:3], v34, v36
	v_add3_u32 v39, v39, v46, v40
	v_lshlrev_b64 v[24:25], 3, v[24:25]
	v_addc_co_u32_e64 v37, s[2:3], v35, v37, s[2:3]
	global_load_dwordx2 v[40:41], v[26:27], off
	v_add_co_u32_e64 v24, s[2:3], v34, v24
	v_addc_co_u32_e64 v25, s[2:3], v35, v25, s[2:3]
	v_lshlrev_b64 v[38:39], 3, v[38:39]
	global_load_dwordx2 v[42:43], v[24:25], off
	global_load_dwordx2 v[44:45], v[36:37], off
	v_add_co_u32_e64 v26, s[2:3], v34, v38
	v_addc_co_u32_e64 v27, s[2:3], v35, v39, s[2:3]
	global_load_dwordx2 v[46:47], v[26:27], off
	ds_read_b128 v[24:27], v22
	ds_read2_b64 v[36:39], v22 offset0:3 offset1:4
	v_add_u32_e32 v22, 48, v22
	s_waitcnt lgkmcnt(1)
	v_xor_b32_e32 v48, 0x80000000, v27
	v_mov_b32_e32 v49, v26
	s_waitcnt lgkmcnt(0)
	v_xor_b32_e32 v50, 0x80000000, v39
	v_mov_b32_e32 v51, v38
	s_waitcnt vmcnt(3)
	v_pk_fma_f32 v[18:19], v[24:25], v[40:41], v[18:19] op_sel_hi:[1,0,1]
	v_pk_fma_f32 v[18:19], v[24:25], v[40:41], v[18:19] op_sel:[1,1,0] op_sel_hi:[0,1,1] neg_lo:[1,0,0]
	s_waitcnt vmcnt(2)
	v_pk_fma_f32 v[18:19], v[26:27], v[42:43], v[18:19] op_sel_hi:[1,0,1]
	v_pk_fma_f32 v[18:19], v[48:49], v[42:43], v[18:19] op_sel:[0,1,0]
	s_waitcnt vmcnt(1)
	v_pk_fma_f32 v[18:19], v[36:37], v[44:45], v[18:19] op_sel_hi:[1,0,1]
	v_pk_fma_f32 v[18:19], v[36:37], v[44:45], v[18:19] op_sel:[1,1,0] op_sel_hi:[0,1,1] neg_lo:[1,0,0]
	s_waitcnt vmcnt(0)
	v_pk_fma_f32 v[18:19], v[38:39], v[46:47], v[18:19] op_sel_hi:[1,0,1]
	v_pk_fma_f32 v[18:19], v[50:51], v[46:47], v[18:19] op_sel:[0,1,0]
	s_cbranch_scc1 .LBB51_20
	s_branch .LBB51_15
.LBB51_21:                              ;   in Loop: Header=BB51_13 Depth=1
	s_or_b64 exec, exec, s[24:25]
.LBB51_22:                              ;   in Loop: Header=BB51_13 Depth=1
	s_or_b64 exec, exec, s[20:21]
	v_cmp_gt_i32_e32 vcc, s22, v16
	s_and_saveexec_b64 s[2:3], vcc
	s_cbranch_execz .LBB51_12
; %bb.23:                               ;   in Loop: Header=BB51_13 Depth=1
	s_and_saveexec_b64 s[20:21], s[4:5]
	s_xor_b64 s[20:21], exec, s[20:21]
	s_cbranch_execz .LBB51_28
; %bb.24:                               ;   in Loop: Header=BB51_13 Depth=1
	s_mov_b64 s[24:25], -1
	s_and_b64 vcc, exec, s[18:19]
	s_cbranch_vccz .LBB51_26
; %bb.25:                               ;   in Loop: Header=BB51_13 Depth=1
	v_lshlrev_b64 v[20:21], 3, v[16:17]
	v_add_co_u32_e32 v20, vcc, v32, v20
	v_addc_co_u32_e32 v21, vcc, v33, v21, vcc
	global_load_dwordx2 v[22:23], v[20:21], off
	v_pk_mul_f32 v[24:25], v[18:19], v[0:1] op_sel:[1,0]
	v_pk_fma_f32 v[24:25], v[2:3], v[18:19], v[24:25] op_sel_hi:[1,0,1]
	s_mov_b64 s[24:25], 0
	s_waitcnt vmcnt(0)
	v_pk_fma_f32 v[24:25], v[4:5], v[22:23], v[24:25] op_sel_hi:[1,0,1]
	v_pk_fma_f32 v[22:23], v[8:9], v[22:23], v[24:25] op_sel:[0,1,0]
	global_store_dwordx2 v[20:21], v[22:23], off
.LBB51_26:                              ;   in Loop: Header=BB51_13 Depth=1
	s_andn2_b64 vcc, exec, s[24:25]
	s_cbranch_vccnz .LBB51_28
; %bb.27:                               ;   in Loop: Header=BB51_13 Depth=1
	v_mul_lo_u32 v20, v17, s26
	v_mul_lo_u32 v21, v16, s27
	v_mad_u64_u32 v[16:17], s[24:25], v16, s26, 0
	v_add3_u32 v17, v17, v21, v20
	v_lshlrev_b64 v[16:17], 3, v[16:17]
	v_add_co_u32_e32 v16, vcc, v30, v16
	v_addc_co_u32_e32 v17, vcc, v31, v17, vcc
	global_load_dwordx2 v[20:21], v[16:17], off
	v_pk_mul_f32 v[22:23], v[18:19], v[0:1] op_sel:[1,0]
	v_pk_fma_f32 v[18:19], v[2:3], v[18:19], v[22:23] op_sel_hi:[1,0,1]
	s_waitcnt vmcnt(0)
	v_pk_fma_f32 v[18:19], v[4:5], v[20:21], v[18:19] op_sel_hi:[1,0,1]
	v_pk_fma_f32 v[18:19], v[8:9], v[20:21], v[18:19] op_sel:[0,1,0]
	global_store_dwordx2 v[16:17], v[18:19], off
                                        ; implicit-def: $vgpr18_vgpr19
                                        ; implicit-def: $vgpr16
.LBB51_28:                              ;   in Loop: Header=BB51_13 Depth=1
	s_andn2_saveexec_b64 s[20:21], s[20:21]
	s_cbranch_execz .LBB51_12
; %bb.29:                               ;   in Loop: Header=BB51_13 Depth=1
	v_pk_mul_f32 v[20:21], v[18:19], v[0:1] op_sel:[1,0]
	v_pk_fma_f32 v[18:19], v[2:3], v[18:19], v[20:21] op_sel_hi:[1,0,1]
	s_mov_b64 s[20:21], -1
	s_and_b64 vcc, exec, s[18:19]
	s_cbranch_vccz .LBB51_31
; %bb.30:                               ;   in Loop: Header=BB51_13 Depth=1
	v_lshlrev_b64 v[20:21], 3, v[16:17]
	v_add_co_u32_e32 v20, vcc, v32, v20
	v_addc_co_u32_e32 v21, vcc, v33, v21, vcc
	global_store_dwordx2 v[20:21], v[18:19], off
	s_mov_b64 s[20:21], 0
.LBB51_31:                              ;   in Loop: Header=BB51_13 Depth=1
	s_andn2_b64 vcc, exec, s[20:21]
	s_cbranch_vccnz .LBB51_12
; %bb.32:                               ;   in Loop: Header=BB51_13 Depth=1
	v_mul_lo_u32 v20, v17, s26
	v_mul_lo_u32 v21, v16, s27
	v_mad_u64_u32 v[16:17], s[20:21], v16, s26, 0
	v_add3_u32 v17, v17, v21, v20
	v_lshlrev_b64 v[16:17], 3, v[16:17]
	v_add_co_u32_e32 v16, vcc, v30, v16
	v_addc_co_u32_e32 v17, vcc, v31, v17, vcc
	global_store_dwordx2 v[16:17], v[18:19], off
	s_branch .LBB51_12
.LBB51_33:
	s_endpgm
.LBB51_34:
	v_pk_mov_b32 v[4:5], s[8:9], s[8:9] op_sel:[0,1]
	flat_load_dword v3, v[4:5] offset:4
	s_and_b64 vcc, exec, s[0:1]
	v_mov_b32_e32 v4, s2
	s_cbranch_vccnz .LBB51_4
.LBB51_35:
	v_pk_mov_b32 v[4:5], s[2:3], s[2:3] op_sel:[0,1]
	flat_load_dword v4, v[4:5]
	s_and_b64 vcc, exec, s[0:1]
	v_mov_b32_e32 v5, s3
	s_cbranch_vccz .LBB51_5
	s_branch .LBB51_6
	.section	.rodata,"a",@progbits
	.p2align	6, 0x0
	.amdhsa_kernel _ZN9rocsparseL29bsrmmnt_small_blockdim_kernelILj64ELj32ELj2Eli21rocsparse_complex_numIfES2_S2_S2_EEv20rocsparse_direction_T3_S4_llNS_24const_host_device_scalarIT7_EEPKT2_PKS4_PKT4_PKT5_llS7_PT6_ll16rocsparse_order_21rocsparse_index_base_b
		.amdhsa_group_segment_fixed_size 1792
		.amdhsa_private_segment_fixed_size 0
		.amdhsa_kernarg_size 392
		.amdhsa_user_sgpr_count 6
		.amdhsa_user_sgpr_private_segment_buffer 1
		.amdhsa_user_sgpr_dispatch_ptr 0
		.amdhsa_user_sgpr_queue_ptr 0
		.amdhsa_user_sgpr_kernarg_segment_ptr 1
		.amdhsa_user_sgpr_dispatch_id 0
		.amdhsa_user_sgpr_flat_scratch_init 0
		.amdhsa_user_sgpr_kernarg_preload_length 0
		.amdhsa_user_sgpr_kernarg_preload_offset 0
		.amdhsa_user_sgpr_private_segment_size 0
		.amdhsa_uses_dynamic_stack 0
		.amdhsa_system_sgpr_private_segment_wavefront_offset 0
		.amdhsa_system_sgpr_workgroup_id_x 1
		.amdhsa_system_sgpr_workgroup_id_y 0
		.amdhsa_system_sgpr_workgroup_id_z 0
		.amdhsa_system_sgpr_workgroup_info 0
		.amdhsa_system_vgpr_workitem_id 0
		.amdhsa_next_free_vgpr 52
		.amdhsa_next_free_sgpr 30
		.amdhsa_accum_offset 52
		.amdhsa_reserve_vcc 1
		.amdhsa_reserve_flat_scratch 0
		.amdhsa_float_round_mode_32 0
		.amdhsa_float_round_mode_16_64 0
		.amdhsa_float_denorm_mode_32 3
		.amdhsa_float_denorm_mode_16_64 3
		.amdhsa_dx10_clamp 1
		.amdhsa_ieee_mode 1
		.amdhsa_fp16_overflow 0
		.amdhsa_tg_split 0
		.amdhsa_exception_fp_ieee_invalid_op 0
		.amdhsa_exception_fp_denorm_src 0
		.amdhsa_exception_fp_ieee_div_zero 0
		.amdhsa_exception_fp_ieee_overflow 0
		.amdhsa_exception_fp_ieee_underflow 0
		.amdhsa_exception_fp_ieee_inexact 0
		.amdhsa_exception_int_div_zero 0
	.end_amdhsa_kernel
	.section	.text._ZN9rocsparseL29bsrmmnt_small_blockdim_kernelILj64ELj32ELj2Eli21rocsparse_complex_numIfES2_S2_S2_EEv20rocsparse_direction_T3_S4_llNS_24const_host_device_scalarIT7_EEPKT2_PKS4_PKT4_PKT5_llS7_PT6_ll16rocsparse_order_21rocsparse_index_base_b,"axG",@progbits,_ZN9rocsparseL29bsrmmnt_small_blockdim_kernelILj64ELj32ELj2Eli21rocsparse_complex_numIfES2_S2_S2_EEv20rocsparse_direction_T3_S4_llNS_24const_host_device_scalarIT7_EEPKT2_PKS4_PKT4_PKT5_llS7_PT6_ll16rocsparse_order_21rocsparse_index_base_b,comdat
.Lfunc_end51:
	.size	_ZN9rocsparseL29bsrmmnt_small_blockdim_kernelILj64ELj32ELj2Eli21rocsparse_complex_numIfES2_S2_S2_EEv20rocsparse_direction_T3_S4_llNS_24const_host_device_scalarIT7_EEPKT2_PKS4_PKT4_PKT5_llS7_PT6_ll16rocsparse_order_21rocsparse_index_base_b, .Lfunc_end51-_ZN9rocsparseL29bsrmmnt_small_blockdim_kernelILj64ELj32ELj2Eli21rocsparse_complex_numIfES2_S2_S2_EEv20rocsparse_direction_T3_S4_llNS_24const_host_device_scalarIT7_EEPKT2_PKS4_PKT4_PKT5_llS7_PT6_ll16rocsparse_order_21rocsparse_index_base_b
                                        ; -- End function
	.section	.AMDGPU.csdata,"",@progbits
; Kernel info:
; codeLenInByte = 1804
; NumSgprs: 34
; NumVgprs: 52
; NumAgprs: 0
; TotalNumVgprs: 52
; ScratchSize: 0
; MemoryBound: 0
; FloatMode: 240
; IeeeMode: 1
; LDSByteSize: 1792 bytes/workgroup (compile time only)
; SGPRBlocks: 4
; VGPRBlocks: 6
; NumSGPRsForWavesPerEU: 34
; NumVGPRsForWavesPerEU: 52
; AccumOffset: 52
; Occupancy: 8
; WaveLimiterHint : 1
; COMPUTE_PGM_RSRC2:SCRATCH_EN: 0
; COMPUTE_PGM_RSRC2:USER_SGPR: 6
; COMPUTE_PGM_RSRC2:TRAP_HANDLER: 0
; COMPUTE_PGM_RSRC2:TGID_X_EN: 1
; COMPUTE_PGM_RSRC2:TGID_Y_EN: 0
; COMPUTE_PGM_RSRC2:TGID_Z_EN: 0
; COMPUTE_PGM_RSRC2:TIDIG_COMP_CNT: 0
; COMPUTE_PGM_RSRC3_GFX90A:ACCUM_OFFSET: 12
; COMPUTE_PGM_RSRC3_GFX90A:TG_SPLIT: 0
	.section	.text._ZN9rocsparseL29bsrmmnt_small_blockdim_kernelILj64ELj64ELj2Eli21rocsparse_complex_numIfES2_S2_S2_EEv20rocsparse_direction_T3_S4_llNS_24const_host_device_scalarIT7_EEPKT2_PKS4_PKT4_PKT5_llS7_PT6_ll16rocsparse_order_21rocsparse_index_base_b,"axG",@progbits,_ZN9rocsparseL29bsrmmnt_small_blockdim_kernelILj64ELj64ELj2Eli21rocsparse_complex_numIfES2_S2_S2_EEv20rocsparse_direction_T3_S4_llNS_24const_host_device_scalarIT7_EEPKT2_PKS4_PKT4_PKT5_llS7_PT6_ll16rocsparse_order_21rocsparse_index_base_b,comdat
	.globl	_ZN9rocsparseL29bsrmmnt_small_blockdim_kernelILj64ELj64ELj2Eli21rocsparse_complex_numIfES2_S2_S2_EEv20rocsparse_direction_T3_S4_llNS_24const_host_device_scalarIT7_EEPKT2_PKS4_PKT4_PKT5_llS7_PT6_ll16rocsparse_order_21rocsparse_index_base_b ; -- Begin function _ZN9rocsparseL29bsrmmnt_small_blockdim_kernelILj64ELj64ELj2Eli21rocsparse_complex_numIfES2_S2_S2_EEv20rocsparse_direction_T3_S4_llNS_24const_host_device_scalarIT7_EEPKT2_PKS4_PKT4_PKT5_llS7_PT6_ll16rocsparse_order_21rocsparse_index_base_b
	.p2align	8
	.type	_ZN9rocsparseL29bsrmmnt_small_blockdim_kernelILj64ELj64ELj2Eli21rocsparse_complex_numIfES2_S2_S2_EEv20rocsparse_direction_T3_S4_llNS_24const_host_device_scalarIT7_EEPKT2_PKS4_PKT4_PKT5_llS7_PT6_ll16rocsparse_order_21rocsparse_index_base_b,@function
_ZN9rocsparseL29bsrmmnt_small_blockdim_kernelILj64ELj64ELj2Eli21rocsparse_complex_numIfES2_S2_S2_EEv20rocsparse_direction_T3_S4_llNS_24const_host_device_scalarIT7_EEPKT2_PKS4_PKT4_PKT5_llS7_PT6_ll16rocsparse_order_21rocsparse_index_base_b: ; @_ZN9rocsparseL29bsrmmnt_small_blockdim_kernelILj64ELj64ELj2Eli21rocsparse_complex_numIfES2_S2_S2_EEv20rocsparse_direction_T3_S4_llNS_24const_host_device_scalarIT7_EEPKT2_PKS4_PKT4_PKT5_llS7_PT6_ll16rocsparse_order_21rocsparse_index_base_b
; %bb.0:
	s_load_dwordx4 s[16:19], s[4:5], 0x78
	s_load_dwordx2 s[8:9], s[4:5], 0x20
	s_load_dwordx2 s[2:3], s[4:5], 0x58
	s_waitcnt lgkmcnt(0)
	s_bitcmp1_b32 s18, 0
	s_cselect_b64 s[0:1], -1, 0
	s_xor_b64 s[10:11], s[0:1], -1
	s_and_b64 vcc, exec, s[0:1]
	v_mov_b32_e32 v2, s8
	s_cbranch_vccnz .LBB52_2
; %bb.1:
	v_pk_mov_b32 v[2:3], s[8:9], s[8:9] op_sel:[0,1]
	flat_load_dword v2, v[2:3]
.LBB52_2:
	v_cndmask_b32_e64 v1, 0, 1, s[10:11]
	v_cmp_ne_u32_e64 s[0:1], 1, v1
	s_andn2_b64 vcc, exec, s[10:11]
	v_mov_b32_e32 v3, s9
	s_cbranch_vccz .LBB52_34
; %bb.3:
	s_and_b64 vcc, exec, s[0:1]
	v_mov_b32_e32 v4, s2
	s_cbranch_vccz .LBB52_35
.LBB52_4:
	s_and_b64 vcc, exec, s[0:1]
	v_mov_b32_e32 v5, s3
	s_cbranch_vccnz .LBB52_6
.LBB52_5:
	v_pk_mov_b32 v[6:7], s[2:3], s[2:3] op_sel:[0,1]
	flat_load_dword v5, v[6:7] offset:4
.LBB52_6:
	s_waitcnt vmcnt(0) lgkmcnt(0)
	v_and_b32_e32 v1, 0x7fffffff, v2
	v_cmp_eq_u32_e32 vcc, 0, v1
	v_cmp_eq_f32_e64 s[0:1], 0, v3
	s_and_b64 s[8:9], vcc, s[0:1]
	s_mov_b64 s[0:1], -1
	s_and_saveexec_b64 s[2:3], s[8:9]
; %bb.7:
	v_and_b32_e32 v1, 0x7fffffff, v5
	v_cmp_neq_f32_e32 vcc, 1.0, v4
	v_cmp_ne_u32_e64 s[0:1], 0, v1
	s_or_b64 s[0:1], vcc, s[0:1]
	s_orn2_b64 s[0:1], s[0:1], exec
; %bb.8:
	s_or_b64 exec, exec, s[2:3]
	s_and_saveexec_b64 s[2:3], s[0:1]
	s_cbranch_execz .LBB52_33
; %bb.9:
	s_load_dword s0, s[4:5], 0x94
	s_load_dwordx4 s[20:23], s[4:5], 0x0
	s_waitcnt lgkmcnt(0)
	s_and_b32 s0, s0, 0xffff
	s_mul_i32 s6, s6, s0
	v_add_u32_e32 v1, s6, v0
	v_lshrrev_b32_e32 v6, 7, v1
	v_cmp_gt_i32_e32 vcc, s21, v6
	s_and_b64 exec, exec, vcc
	s_cbranch_execz .LBB52_33
; %bb.10:
	s_cmp_lt_i32 s22, 1
	s_cbranch_scc1 .LBB52_33
; %bb.11:
	s_load_dwordx8 s[8:15], s[4:5], 0x28
	v_lshlrev_b32_e32 v6, 3, v6
	v_and_b32_e32 v12, 0x7fffffff, v4
	v_cmp_neq_f32_e32 vcc, 0, v5
	v_cmp_ne_u32_e64 s[0:1], 0, v12
	s_waitcnt lgkmcnt(0)
	global_load_dwordx4 v[16:19], v6, s[8:9]
	s_load_dwordx4 s[24:27], s[4:5], 0x60
	s_load_dwordx2 s[8:9], s[4:5], 0x48
	s_or_b64 s[4:5], s[0:1], vcc
	v_lshrrev_b32_e32 v15, 6, v1
	v_mul_u32_u24_e32 v13, 3, v0
	s_cmp_lg_u32 s16, 1
	v_lshlrev_b32_e32 v28, 3, v13
	s_cselect_b64 s[18:19], -1, 0
	s_cmp_eq_u32 s20, 0
	s_waitcnt lgkmcnt(0)
	v_mad_u64_u32 v[12:13], s[0:1], v15, s26, 0
	s_cselect_b64 s[0:1], -1, 0
	v_mov_b32_e32 v14, v13
	v_lshlrev_b32_e32 v20, 3, v15
	v_cndmask_b32_e64 v22, 0, 1, s[0:1]
	s_and_b64 s[0:1], s[0:1], exec
	v_mad_u64_u32 v[14:15], s[0:1], v15, s27, v[14:15]
	v_mov_b32_e32 v21, s25
	v_add_co_u32_e32 v29, vcc, s24, v20
	v_mov_b32_e32 v13, v14
	v_addc_co_u32_e32 v30, vcc, 0, v21, vcc
	v_lshlrev_b64 v[12:13], 3, v[12:13]
	v_add_co_u32_e32 v31, vcc, s24, v12
	v_addc_co_u32_e32 v32, vcc, v21, v13, vcc
	v_bfe_u32 v10, v1, 6, 1
	v_mov_b32_e32 v1, 0x600
	s_mov_b32 s6, 0
	v_xor_b32_e32 v6, 0x80000000, v3
	v_xor_b32_e32 v8, 0x80000000, v5
	v_mov_b32_e32 v7, v2
	v_mov_b32_e32 v9, v4
	v_lshl_or_b32 v11, v0, 2, v1
	v_lshlrev_b32_e32 v10, v22, v10
	s_cselect_b32 s16, 1, 2
	s_mov_b32 s23, 0
	s_waitcnt vmcnt(0)
	v_subrev_co_u32_e32 v12, vcc, s17, v16
	v_subbrev_co_u32_e32 v13, vcc, 0, v17, vcc
	v_subrev_co_u32_e32 v14, vcc, s17, v18
	v_subbrev_co_u32_e32 v15, vcc, 0, v19, vcc
	v_cmp_lt_i64_e64 s[0:1], v[16:17], v[18:19]
	s_branch .LBB52_13
.LBB52_12:                              ;   in Loop: Header=BB52_13 Depth=1
	s_or_b64 exec, exec, s[2:3]
	s_add_i32 s23, s23, 64
	s_cmp_lt_i32 s23, s22
	s_cbranch_scc0 .LBB52_33
.LBB52_13:                              ; =>This Loop Header: Depth=1
                                        ;     Child Loop BB52_16 Depth 2
                                        ;       Child Loop BB52_20 Depth 3
	v_or_b32_e32 v16, s23, v0
	s_mov_b32 s7, s6
	v_pk_mov_b32 v[18:19], s[6:7], s[6:7] op_sel:[0,1]
	v_ashrrev_i32_e32 v17, 31, v16
	s_and_saveexec_b64 s[20:21], s[0:1]
	s_cbranch_execz .LBB52_22
; %bb.14:                               ;   in Loop: Header=BB52_13 Depth=1
	v_lshlrev_b64 v[18:19], 3, v[16:17]
	v_mov_b32_e32 v20, s15
	v_add_co_u32_e64 v33, s[2:3], s14, v18
	v_cmp_gt_i32_e32 vcc, s22, v16
	v_addc_co_u32_e64 v34, s[2:3], v20, v19, s[2:3]
	s_mov_b64 s[24:25], 0
	v_pk_mov_b32 v[18:19], s[6:7], s[6:7] op_sel:[0,1]
	v_pk_mov_b32 v[20:21], v[12:13], v[12:13] op_sel:[0,1]
	s_branch .LBB52_16
.LBB52_15:                              ;   in Loop: Header=BB52_16 Depth=2
	s_or_b64 exec, exec, s[28:29]
	v_add_co_u32_e64 v20, s[2:3], 64, v20
	v_addc_co_u32_e64 v21, s[2:3], 0, v21, s[2:3]
	v_cmp_ge_i64_e64 s[2:3], v[20:21], v[14:15]
	s_or_b64 s[24:25], s[2:3], s[24:25]
	s_andn2_b64 exec, exec, s[24:25]
	s_cbranch_execz .LBB52_21
.LBB52_16:                              ;   Parent Loop BB52_13 Depth=1
                                        ; =>  This Loop Header: Depth=2
                                        ;       Child Loop BB52_20 Depth 3
	v_add_co_u32_e64 v26, s[2:3], v20, v0
	v_addc_co_u32_e64 v27, s[2:3], 0, v21, s[2:3]
	v_cmp_lt_i64_e64 s[2:3], v[26:27], v[14:15]
	v_mov_b32_e32 v35, 0
	v_mov_b32_e32 v22, 0
	;; [unrolled: 1-line block ×5, first 2 shown]
	s_and_saveexec_b64 s[28:29], s[2:3]
	s_cbranch_execz .LBB52_18
; %bb.17:                               ;   in Loop: Header=BB52_16 Depth=2
	v_lshlrev_b64 v[22:23], 2, v[26:27]
	v_mov_b32_e32 v25, s11
	v_add_co_u32_e64 v24, s[2:3], s10, v22
	v_addc_co_u32_e64 v25, s[2:3], v25, v23, s[2:3]
	v_or_b32_e32 v23, 0, v23
	v_or_b32_e32 v22, v22, v10
	global_load_dword v35, v[24:25], off
	v_lshlrev_b64 v[24:25], 3, v[22:23]
	v_mov_b32_e32 v37, s13
	v_add_co_u32_e64 v26, s[2:3], s12, v24
	v_or_b32_e32 v23, 0, v23
	v_or_b32_e32 v22, s16, v22
	v_addc_co_u32_e64 v27, s[2:3], v37, v25, s[2:3]
	v_lshlrev_b64 v[22:23], 3, v[22:23]
	v_add_co_u32_e64 v36, s[2:3], s12, v22
	v_addc_co_u32_e64 v37, s[2:3], v37, v23, s[2:3]
	global_load_dwordx2 v[22:23], v[26:27], off
	global_load_dwordx2 v[24:25], v[36:37], off
	s_waitcnt vmcnt(2)
	v_subrev_u32_e32 v26, s17, v35
	v_lshlrev_b32_e32 v35, 1, v26
.LBB52_18:                              ;   in Loop: Header=BB52_16 Depth=2
	s_or_b64 exec, exec, s[28:29]
	ds_write_b32 v11, v35
	s_waitcnt vmcnt(0)
	ds_write2_b64 v28, v[22:23], v[24:25] offset1:1
	s_waitcnt lgkmcnt(0)
	; wave barrier
	s_waitcnt lgkmcnt(0)
	s_and_saveexec_b64 s[28:29], vcc
	s_cbranch_execz .LBB52_15
; %bb.19:                               ;   in Loop: Header=BB52_16 Depth=2
	s_mov_b32 s7, 0
	v_mov_b32_e32 v22, 0
.LBB52_20:                              ;   Parent Loop BB52_13 Depth=1
                                        ;     Parent Loop BB52_16 Depth=2
                                        ; =>    This Inner Loop Header: Depth=3
	v_add_u32_e32 v23, s7, v1
	ds_read_b64 v[24:25], v23
	s_add_i32 s7, s7, 8
	s_cmpk_lg_i32 s7, 0x100
	s_waitcnt lgkmcnt(0)
	v_ashrrev_i32_e32 v23, 31, v24
	v_mul_lo_u32 v35, v24, s9
	v_mad_u64_u32 v[26:27], s[2:3], v24, s8, 0
	v_mul_lo_u32 v23, v23, s8
	v_add_u32_e32 v24, 1, v24
	v_ashrrev_i32_e32 v38, 31, v25
	v_add_u32_e32 v39, 1, v25
	v_add3_u32 v27, v27, v35, v23
	v_mul_lo_u32 v40, v25, s9
	v_mad_u64_u32 v[36:37], s[2:3], v25, s8, 0
	v_ashrrev_i32_e32 v41, 31, v24
	v_mul_lo_u32 v42, v24, s9
	v_mad_u64_u32 v[24:25], s[2:3], v24, s8, 0
	v_mul_lo_u32 v43, v38, s8
	v_ashrrev_i32_e32 v44, 31, v39
	v_mul_lo_u32 v45, v39, s9
	v_mad_u64_u32 v[38:39], s[2:3], v39, s8, 0
	v_lshlrev_b64 v[26:27], 3, v[26:27]
	v_add3_u32 v37, v37, v40, v43
	v_add_co_u32_e64 v26, s[2:3], v33, v26
	v_mul_lo_u32 v23, v41, s8
	v_lshlrev_b64 v[36:37], 3, v[36:37]
	v_addc_co_u32_e64 v27, s[2:3], v34, v27, s[2:3]
	v_add3_u32 v25, v25, v42, v23
	v_add_co_u32_e64 v36, s[2:3], v33, v36
	v_lshlrev_b64 v[24:25], 3, v[24:25]
	v_addc_co_u32_e64 v37, s[2:3], v34, v37, s[2:3]
	global_load_dwordx2 v[40:41], v[26:27], off
	v_mul_lo_u32 v35, v44, s8
	v_add_co_u32_e64 v24, s[2:3], v33, v24
	v_add3_u32 v39, v39, v45, v35
	v_addc_co_u32_e64 v25, s[2:3], v34, v25, s[2:3]
	v_lshlrev_b64 v[38:39], 3, v[38:39]
	global_load_dwordx2 v[42:43], v[24:25], off
	global_load_dwordx2 v[44:45], v[36:37], off
	v_add_co_u32_e64 v26, s[2:3], v33, v38
	v_addc_co_u32_e64 v27, s[2:3], v34, v39, s[2:3]
	global_load_dwordx2 v[46:47], v[26:27], off
	ds_read_b128 v[24:27], v22
	ds_read2_b64 v[36:39], v22 offset0:3 offset1:4
	v_add_u32_e32 v22, 48, v22
	s_waitcnt lgkmcnt(1)
	v_xor_b32_e32 v48, 0x80000000, v27
	v_mov_b32_e32 v49, v26
	s_waitcnt lgkmcnt(0)
	v_xor_b32_e32 v50, 0x80000000, v39
	v_mov_b32_e32 v51, v38
	s_waitcnt vmcnt(3)
	v_pk_fma_f32 v[18:19], v[24:25], v[40:41], v[18:19] op_sel_hi:[1,0,1]
	v_pk_fma_f32 v[18:19], v[24:25], v[40:41], v[18:19] op_sel:[1,1,0] op_sel_hi:[0,1,1] neg_lo:[1,0,0]
	s_waitcnt vmcnt(2)
	v_pk_fma_f32 v[18:19], v[26:27], v[42:43], v[18:19] op_sel_hi:[1,0,1]
	v_pk_fma_f32 v[18:19], v[48:49], v[42:43], v[18:19] op_sel:[0,1,0]
	s_waitcnt vmcnt(1)
	v_pk_fma_f32 v[18:19], v[36:37], v[44:45], v[18:19] op_sel_hi:[1,0,1]
	v_pk_fma_f32 v[18:19], v[36:37], v[44:45], v[18:19] op_sel:[1,1,0] op_sel_hi:[0,1,1] neg_lo:[1,0,0]
	s_waitcnt vmcnt(0)
	v_pk_fma_f32 v[18:19], v[38:39], v[46:47], v[18:19] op_sel_hi:[1,0,1]
	v_pk_fma_f32 v[18:19], v[50:51], v[46:47], v[18:19] op_sel:[0,1,0]
	s_cbranch_scc1 .LBB52_20
	s_branch .LBB52_15
.LBB52_21:                              ;   in Loop: Header=BB52_13 Depth=1
	s_or_b64 exec, exec, s[24:25]
.LBB52_22:                              ;   in Loop: Header=BB52_13 Depth=1
	s_or_b64 exec, exec, s[20:21]
	v_cmp_gt_i32_e32 vcc, s22, v16
	s_and_saveexec_b64 s[2:3], vcc
	s_cbranch_execz .LBB52_12
; %bb.23:                               ;   in Loop: Header=BB52_13 Depth=1
	s_and_saveexec_b64 s[20:21], s[4:5]
	s_xor_b64 s[20:21], exec, s[20:21]
	s_cbranch_execz .LBB52_28
; %bb.24:                               ;   in Loop: Header=BB52_13 Depth=1
	s_mov_b64 s[24:25], -1
	s_and_b64 vcc, exec, s[18:19]
	s_cbranch_vccz .LBB52_26
; %bb.25:                               ;   in Loop: Header=BB52_13 Depth=1
	v_lshlrev_b64 v[20:21], 3, v[16:17]
	v_add_co_u32_e32 v20, vcc, v31, v20
	v_addc_co_u32_e32 v21, vcc, v32, v21, vcc
	global_load_dwordx2 v[22:23], v[20:21], off
	v_pk_mul_f32 v[24:25], v[18:19], v[6:7] op_sel:[1,0]
	v_pk_fma_f32 v[24:25], v[2:3], v[18:19], v[24:25] op_sel_hi:[1,0,1]
	s_mov_b64 s[24:25], 0
	s_waitcnt vmcnt(0)
	v_pk_fma_f32 v[24:25], v[4:5], v[22:23], v[24:25] op_sel_hi:[1,0,1]
	v_pk_fma_f32 v[22:23], v[8:9], v[22:23], v[24:25] op_sel:[0,1,0]
	global_store_dwordx2 v[20:21], v[22:23], off
.LBB52_26:                              ;   in Loop: Header=BB52_13 Depth=1
	s_andn2_b64 vcc, exec, s[24:25]
	s_cbranch_vccnz .LBB52_28
; %bb.27:                               ;   in Loop: Header=BB52_13 Depth=1
	v_mul_lo_u32 v20, v17, s26
	v_mul_lo_u32 v21, v16, s27
	v_mad_u64_u32 v[16:17], s[24:25], v16, s26, 0
	v_add3_u32 v17, v17, v21, v20
	v_lshlrev_b64 v[16:17], 3, v[16:17]
	v_add_co_u32_e32 v16, vcc, v29, v16
	v_addc_co_u32_e32 v17, vcc, v30, v17, vcc
	global_load_dwordx2 v[20:21], v[16:17], off
	v_pk_mul_f32 v[22:23], v[18:19], v[6:7] op_sel:[1,0]
	v_pk_fma_f32 v[18:19], v[2:3], v[18:19], v[22:23] op_sel_hi:[1,0,1]
	s_waitcnt vmcnt(0)
	v_pk_fma_f32 v[18:19], v[4:5], v[20:21], v[18:19] op_sel_hi:[1,0,1]
	v_pk_fma_f32 v[18:19], v[8:9], v[20:21], v[18:19] op_sel:[0,1,0]
	global_store_dwordx2 v[16:17], v[18:19], off
                                        ; implicit-def: $vgpr18_vgpr19
                                        ; implicit-def: $vgpr16
.LBB52_28:                              ;   in Loop: Header=BB52_13 Depth=1
	s_andn2_saveexec_b64 s[20:21], s[20:21]
	s_cbranch_execz .LBB52_12
; %bb.29:                               ;   in Loop: Header=BB52_13 Depth=1
	v_pk_mul_f32 v[20:21], v[18:19], v[6:7] op_sel:[1,0]
	v_pk_fma_f32 v[18:19], v[2:3], v[18:19], v[20:21] op_sel_hi:[1,0,1]
	s_mov_b64 s[20:21], -1
	s_and_b64 vcc, exec, s[18:19]
	s_cbranch_vccz .LBB52_31
; %bb.30:                               ;   in Loop: Header=BB52_13 Depth=1
	v_lshlrev_b64 v[20:21], 3, v[16:17]
	v_add_co_u32_e32 v20, vcc, v31, v20
	v_addc_co_u32_e32 v21, vcc, v32, v21, vcc
	global_store_dwordx2 v[20:21], v[18:19], off
	s_mov_b64 s[20:21], 0
.LBB52_31:                              ;   in Loop: Header=BB52_13 Depth=1
	s_andn2_b64 vcc, exec, s[20:21]
	s_cbranch_vccnz .LBB52_12
; %bb.32:                               ;   in Loop: Header=BB52_13 Depth=1
	v_mul_lo_u32 v20, v17, s26
	v_mul_lo_u32 v21, v16, s27
	v_mad_u64_u32 v[16:17], s[20:21], v16, s26, 0
	v_add3_u32 v17, v17, v21, v20
	v_lshlrev_b64 v[16:17], 3, v[16:17]
	v_add_co_u32_e32 v16, vcc, v29, v16
	v_addc_co_u32_e32 v17, vcc, v30, v17, vcc
	global_store_dwordx2 v[16:17], v[18:19], off
	s_branch .LBB52_12
.LBB52_33:
	s_endpgm
.LBB52_34:
	v_pk_mov_b32 v[4:5], s[8:9], s[8:9] op_sel:[0,1]
	flat_load_dword v3, v[4:5] offset:4
	s_and_b64 vcc, exec, s[0:1]
	v_mov_b32_e32 v4, s2
	s_cbranch_vccnz .LBB52_4
.LBB52_35:
	v_pk_mov_b32 v[4:5], s[2:3], s[2:3] op_sel:[0,1]
	flat_load_dword v4, v[4:5]
	s_and_b64 vcc, exec, s[0:1]
	v_mov_b32_e32 v5, s3
	s_cbranch_vccz .LBB52_5
	s_branch .LBB52_6
	.section	.rodata,"a",@progbits
	.p2align	6, 0x0
	.amdhsa_kernel _ZN9rocsparseL29bsrmmnt_small_blockdim_kernelILj64ELj64ELj2Eli21rocsparse_complex_numIfES2_S2_S2_EEv20rocsparse_direction_T3_S4_llNS_24const_host_device_scalarIT7_EEPKT2_PKS4_PKT4_PKT5_llS7_PT6_ll16rocsparse_order_21rocsparse_index_base_b
		.amdhsa_group_segment_fixed_size 1792
		.amdhsa_private_segment_fixed_size 0
		.amdhsa_kernarg_size 392
		.amdhsa_user_sgpr_count 6
		.amdhsa_user_sgpr_private_segment_buffer 1
		.amdhsa_user_sgpr_dispatch_ptr 0
		.amdhsa_user_sgpr_queue_ptr 0
		.amdhsa_user_sgpr_kernarg_segment_ptr 1
		.amdhsa_user_sgpr_dispatch_id 0
		.amdhsa_user_sgpr_flat_scratch_init 0
		.amdhsa_user_sgpr_kernarg_preload_length 0
		.amdhsa_user_sgpr_kernarg_preload_offset 0
		.amdhsa_user_sgpr_private_segment_size 0
		.amdhsa_uses_dynamic_stack 0
		.amdhsa_system_sgpr_private_segment_wavefront_offset 0
		.amdhsa_system_sgpr_workgroup_id_x 1
		.amdhsa_system_sgpr_workgroup_id_y 0
		.amdhsa_system_sgpr_workgroup_id_z 0
		.amdhsa_system_sgpr_workgroup_info 0
		.amdhsa_system_vgpr_workitem_id 0
		.amdhsa_next_free_vgpr 52
		.amdhsa_next_free_sgpr 30
		.amdhsa_accum_offset 52
		.amdhsa_reserve_vcc 1
		.amdhsa_reserve_flat_scratch 0
		.amdhsa_float_round_mode_32 0
		.amdhsa_float_round_mode_16_64 0
		.amdhsa_float_denorm_mode_32 3
		.amdhsa_float_denorm_mode_16_64 3
		.amdhsa_dx10_clamp 1
		.amdhsa_ieee_mode 1
		.amdhsa_fp16_overflow 0
		.amdhsa_tg_split 0
		.amdhsa_exception_fp_ieee_invalid_op 0
		.amdhsa_exception_fp_denorm_src 0
		.amdhsa_exception_fp_ieee_div_zero 0
		.amdhsa_exception_fp_ieee_overflow 0
		.amdhsa_exception_fp_ieee_underflow 0
		.amdhsa_exception_fp_ieee_inexact 0
		.amdhsa_exception_int_div_zero 0
	.end_amdhsa_kernel
	.section	.text._ZN9rocsparseL29bsrmmnt_small_blockdim_kernelILj64ELj64ELj2Eli21rocsparse_complex_numIfES2_S2_S2_EEv20rocsparse_direction_T3_S4_llNS_24const_host_device_scalarIT7_EEPKT2_PKS4_PKT4_PKT5_llS7_PT6_ll16rocsparse_order_21rocsparse_index_base_b,"axG",@progbits,_ZN9rocsparseL29bsrmmnt_small_blockdim_kernelILj64ELj64ELj2Eli21rocsparse_complex_numIfES2_S2_S2_EEv20rocsparse_direction_T3_S4_llNS_24const_host_device_scalarIT7_EEPKT2_PKS4_PKT4_PKT5_llS7_PT6_ll16rocsparse_order_21rocsparse_index_base_b,comdat
.Lfunc_end52:
	.size	_ZN9rocsparseL29bsrmmnt_small_blockdim_kernelILj64ELj64ELj2Eli21rocsparse_complex_numIfES2_S2_S2_EEv20rocsparse_direction_T3_S4_llNS_24const_host_device_scalarIT7_EEPKT2_PKS4_PKT4_PKT5_llS7_PT6_ll16rocsparse_order_21rocsparse_index_base_b, .Lfunc_end52-_ZN9rocsparseL29bsrmmnt_small_blockdim_kernelILj64ELj64ELj2Eli21rocsparse_complex_numIfES2_S2_S2_EEv20rocsparse_direction_T3_S4_llNS_24const_host_device_scalarIT7_EEPKT2_PKS4_PKT4_PKT5_llS7_PT6_ll16rocsparse_order_21rocsparse_index_base_b
                                        ; -- End function
	.section	.AMDGPU.csdata,"",@progbits
; Kernel info:
; codeLenInByte = 1768
; NumSgprs: 34
; NumVgprs: 52
; NumAgprs: 0
; TotalNumVgprs: 52
; ScratchSize: 0
; MemoryBound: 0
; FloatMode: 240
; IeeeMode: 1
; LDSByteSize: 1792 bytes/workgroup (compile time only)
; SGPRBlocks: 4
; VGPRBlocks: 6
; NumSGPRsForWavesPerEU: 34
; NumVGPRsForWavesPerEU: 52
; AccumOffset: 52
; Occupancy: 8
; WaveLimiterHint : 1
; COMPUTE_PGM_RSRC2:SCRATCH_EN: 0
; COMPUTE_PGM_RSRC2:USER_SGPR: 6
; COMPUTE_PGM_RSRC2:TRAP_HANDLER: 0
; COMPUTE_PGM_RSRC2:TGID_X_EN: 1
; COMPUTE_PGM_RSRC2:TGID_Y_EN: 0
; COMPUTE_PGM_RSRC2:TGID_Z_EN: 0
; COMPUTE_PGM_RSRC2:TIDIG_COMP_CNT: 0
; COMPUTE_PGM_RSRC3_GFX90A:ACCUM_OFFSET: 12
; COMPUTE_PGM_RSRC3_GFX90A:TG_SPLIT: 0
	.section	.text._ZN9rocsparseL29bsrmmnt_small_blockdim_kernelILj64ELj8ELj2Ell21rocsparse_complex_numIfES2_S2_S2_EEv20rocsparse_direction_T3_S4_llNS_24const_host_device_scalarIT7_EEPKT2_PKS4_PKT4_PKT5_llS7_PT6_ll16rocsparse_order_21rocsparse_index_base_b,"axG",@progbits,_ZN9rocsparseL29bsrmmnt_small_blockdim_kernelILj64ELj8ELj2Ell21rocsparse_complex_numIfES2_S2_S2_EEv20rocsparse_direction_T3_S4_llNS_24const_host_device_scalarIT7_EEPKT2_PKS4_PKT4_PKT5_llS7_PT6_ll16rocsparse_order_21rocsparse_index_base_b,comdat
	.globl	_ZN9rocsparseL29bsrmmnt_small_blockdim_kernelILj64ELj8ELj2Ell21rocsparse_complex_numIfES2_S2_S2_EEv20rocsparse_direction_T3_S4_llNS_24const_host_device_scalarIT7_EEPKT2_PKS4_PKT4_PKT5_llS7_PT6_ll16rocsparse_order_21rocsparse_index_base_b ; -- Begin function _ZN9rocsparseL29bsrmmnt_small_blockdim_kernelILj64ELj8ELj2Ell21rocsparse_complex_numIfES2_S2_S2_EEv20rocsparse_direction_T3_S4_llNS_24const_host_device_scalarIT7_EEPKT2_PKS4_PKT4_PKT5_llS7_PT6_ll16rocsparse_order_21rocsparse_index_base_b
	.p2align	8
	.type	_ZN9rocsparseL29bsrmmnt_small_blockdim_kernelILj64ELj8ELj2Ell21rocsparse_complex_numIfES2_S2_S2_EEv20rocsparse_direction_T3_S4_llNS_24const_host_device_scalarIT7_EEPKT2_PKS4_PKT4_PKT5_llS7_PT6_ll16rocsparse_order_21rocsparse_index_base_b,@function
_ZN9rocsparseL29bsrmmnt_small_blockdim_kernelILj64ELj8ELj2Ell21rocsparse_complex_numIfES2_S2_S2_EEv20rocsparse_direction_T3_S4_llNS_24const_host_device_scalarIT7_EEPKT2_PKS4_PKT4_PKT5_llS7_PT6_ll16rocsparse_order_21rocsparse_index_base_b: ; @_ZN9rocsparseL29bsrmmnt_small_blockdim_kernelILj64ELj8ELj2Ell21rocsparse_complex_numIfES2_S2_S2_EEv20rocsparse_direction_T3_S4_llNS_24const_host_device_scalarIT7_EEPKT2_PKS4_PKT4_PKT5_llS7_PT6_ll16rocsparse_order_21rocsparse_index_base_b
; %bb.0:
	s_load_dwordx4 s[24:27], s[4:5], 0x80
	s_load_dwordx2 s[8:9], s[4:5], 0x28
	s_load_dwordx2 s[2:3], s[4:5], 0x60
	s_waitcnt lgkmcnt(0)
	s_bitcmp1_b32 s26, 0
	s_cselect_b64 s[0:1], -1, 0
	s_xor_b64 s[10:11], s[0:1], -1
	s_and_b64 vcc, exec, s[0:1]
	v_mov_b32_e32 v2, s8
	s_cbranch_vccnz .LBB53_2
; %bb.1:
	v_pk_mov_b32 v[2:3], s[8:9], s[8:9] op_sel:[0,1]
	flat_load_dword v2, v[2:3]
.LBB53_2:
	v_cndmask_b32_e64 v1, 0, 1, s[10:11]
	v_cmp_ne_u32_e64 s[0:1], 1, v1
	s_andn2_b64 vcc, exec, s[10:11]
	v_mov_b32_e32 v3, s9
	s_cbranch_vccz .LBB53_34
; %bb.3:
	s_and_b64 vcc, exec, s[0:1]
	v_mov_b32_e32 v4, s2
	s_cbranch_vccz .LBB53_35
.LBB53_4:
	s_and_b64 vcc, exec, s[0:1]
	v_mov_b32_e32 v5, s3
	s_cbranch_vccnz .LBB53_6
.LBB53_5:
	v_pk_mov_b32 v[6:7], s[2:3], s[2:3] op_sel:[0,1]
	flat_load_dword v5, v[6:7] offset:4
.LBB53_6:
	s_waitcnt vmcnt(0) lgkmcnt(0)
	v_and_b32_e32 v1, 0x7fffffff, v2
	v_cmp_eq_u32_e32 vcc, 0, v1
	v_cmp_eq_f32_e64 s[0:1], 0, v3
	s_and_b64 s[8:9], vcc, s[0:1]
	s_mov_b64 s[0:1], -1
	s_and_saveexec_b64 s[2:3], s[8:9]
; %bb.7:
	v_and_b32_e32 v1, 0x7fffffff, v5
	v_cmp_neq_f32_e32 vcc, 1.0, v4
	v_cmp_ne_u32_e64 s[0:1], 0, v1
	s_or_b64 s[0:1], vcc, s[0:1]
	s_orn2_b64 s[0:1], s[0:1], exec
; %bb.8:
	s_or_b64 exec, exec, s[2:3]
	s_and_saveexec_b64 s[2:3], s[0:1]
	s_cbranch_execz .LBB53_33
; %bb.9:
	s_load_dword s0, s[4:5], 0x9c
	s_load_dwordx4 s[16:19], s[4:5], 0x8
	v_mov_b32_e32 v7, 0
	s_waitcnt lgkmcnt(0)
	s_and_b32 s0, s0, 0xffff
	s_mul_i32 s6, s6, s0
	v_add_u32_e32 v1, s6, v0
	v_lshrrev_b32_e32 v6, 4, v1
	v_cmp_gt_i64_e32 vcc, s[16:17], v[6:7]
	s_and_b64 exec, exec, vcc
	s_cbranch_execz .LBB53_33
; %bb.10:
	v_cmp_lt_i64_e64 s[0:1], s[18:19], 1
	s_and_b64 vcc, exec, s[0:1]
	s_cbranch_vccnz .LBB53_33
; %bb.11:
	s_load_dwordx8 s[8:15], s[4:5], 0x30
	v_lshlrev_b32_e32 v6, 3, v6
	v_and_b32_e32 v13, 0x7fffffff, v4
	v_cmp_neq_f32_e32 vcc, 0, v5
	v_cmp_ne_u32_e64 s[0:1], 0, v13
	s_waitcnt lgkmcnt(0)
	global_load_dwordx4 v[16:19], v6, s[8:9]
	s_load_dword s2, s[4:5], 0x0
	s_load_dwordx4 s[20:23], s[4:5], 0x68
	s_load_dwordx2 s[8:9], s[4:5], 0x50
	v_and_b32_e32 v6, 7, v0
	v_mul_u32_u24_e32 v13, 3, v6
	s_or_b64 s[4:5], s[0:1], vcc
	v_lshrrev_b32_e32 v15, 3, v1
	v_lshrrev_b32_e32 v12, 3, v0
	v_mov_b32_e32 v7, 0x600
	s_movk_i32 s3, 0xc0
	v_lshlrev_b32_e32 v13, 3, v13
	s_cmp_lg_u32 s24, 1
	v_lshl_or_b32 v7, v12, 6, v7
	v_mul_u32_u24_e32 v30, 0xc0, v12
	v_mad_u32_u24 v32, v12, s3, v13
	s_cselect_b64 s[16:17], -1, 0
	s_waitcnt lgkmcnt(0)
	s_cmp_eq_u32 s2, 0
	v_mad_u64_u32 v[12:13], s[0:1], v15, s22, 0
	v_mov_b32_e32 v14, v13
	s_cselect_b64 s[0:1], -1, 0
	v_bfe_u32 v10, v1, 3, 1
	v_mov_b32_e32 v11, 0
	v_and_b32_e32 v20, -8, v1
	v_cndmask_b32_e64 v13, 0, 1, s[0:1]
	v_mad_u64_u32 v[14:15], s[2:3], v15, s23, v[14:15]
	v_mov_b32_e32 v21, s21
	v_add_co_u32_e32 v33, vcc, s20, v20
	v_lshlrev_b64 v[10:11], v13, v[10:11]
	v_mov_b32_e32 v13, v14
	v_addc_co_u32_e32 v34, vcc, 0, v21, vcc
	v_lshlrev_b64 v[12:13], 3, v[12:13]
	v_add_co_u32_e32 v35, vcc, s20, v12
	v_addc_co_u32_e32 v36, vcc, v21, v13, vcc
	s_mov_b32 s6, 0
	s_and_b64 s[0:1], s[0:1], exec
	s_mov_b32 s30, s25
	v_xor_b32_e32 v0, 0x80000000, v3
	v_xor_b32_e32 v8, 0x80000000, v5
	v_mov_b32_e32 v1, v2
	v_mov_b32_e32 v9, v4
	s_mov_b32 s31, s6
	v_lshl_or_b32 v31, v6, 3, v7
	s_cselect_b32 s33, 1, 2
	s_mov_b64 s[20:21], 0
	s_waitcnt vmcnt(0)
	v_subrev_co_u32_e32 v12, vcc, s25, v16
	v_subbrev_co_u32_e32 v13, vcc, 0, v17, vcc
	v_subrev_co_u32_e32 v14, vcc, s25, v18
	v_subbrev_co_u32_e32 v15, vcc, 0, v19, vcc
	v_cmp_lt_i64_e64 s[0:1], v[16:17], v[18:19]
	s_branch .LBB53_13
.LBB53_12:                              ;   in Loop: Header=BB53_13 Depth=1
	s_or_b64 exec, exec, s[2:3]
	s_add_u32 s20, s20, 8
	s_addc_u32 s21, s21, 0
	v_pk_mov_b32 v[16:17], s[18:19], s[18:19] op_sel:[0,1]
	v_cmp_lt_i64_e32 vcc, s[20:21], v[16:17]
	s_cbranch_vccz .LBB53_33
.LBB53_13:                              ; =>This Loop Header: Depth=1
                                        ;     Child Loop BB53_16 Depth 2
                                        ;       Child Loop BB53_20 Depth 3
	s_mov_b32 s7, s6
	v_or_b32_e64 v17, s21, 0
	v_or_b32_e32 v16, s20, v6
	v_pk_mov_b32 v[18:19], s[6:7], s[6:7] op_sel:[0,1]
	s_and_saveexec_b64 s[24:25], s[0:1]
	s_cbranch_execz .LBB53_22
; %bb.14:                               ;   in Loop: Header=BB53_13 Depth=1
	v_lshlrev_b64 v[18:19], 3, v[16:17]
	v_mov_b32_e32 v20, s15
	v_add_co_u32_e64 v37, s[2:3], s14, v18
	v_cmp_gt_i64_e32 vcc, s[18:19], v[16:17]
	v_addc_co_u32_e64 v38, s[2:3], v20, v19, s[2:3]
	s_mov_b64 s[26:27], 0
	v_pk_mov_b32 v[18:19], s[6:7], s[6:7] op_sel:[0,1]
	v_pk_mov_b32 v[20:21], v[12:13], v[12:13] op_sel:[0,1]
	s_branch .LBB53_16
.LBB53_15:                              ;   in Loop: Header=BB53_16 Depth=2
	s_or_b64 exec, exec, s[28:29]
	v_add_co_u32_e64 v20, s[2:3], 8, v20
	v_addc_co_u32_e64 v21, s[2:3], 0, v21, s[2:3]
	v_cmp_ge_i64_e64 s[2:3], v[20:21], v[14:15]
	s_or_b64 s[26:27], s[2:3], s[26:27]
	s_andn2_b64 exec, exec, s[26:27]
	s_cbranch_execz .LBB53_21
.LBB53_16:                              ;   Parent Loop BB53_13 Depth=1
                                        ; =>  This Loop Header: Depth=2
                                        ;       Child Loop BB53_20 Depth 3
	v_add_co_u32_e64 v26, s[2:3], v20, v6
	v_addc_co_u32_e64 v27, s[2:3], 0, v21, s[2:3]
	v_cmp_lt_i64_e64 s[2:3], v[26:27], v[14:15]
	v_pk_mov_b32 v[28:29], 0, 0
	v_mov_b32_e32 v22, 0
	v_mov_b32_e32 v23, 0
	;; [unrolled: 1-line block ×4, first 2 shown]
	s_and_saveexec_b64 s[28:29], s[2:3]
	s_cbranch_execz .LBB53_18
; %bb.17:                               ;   in Loop: Header=BB53_16 Depth=2
	v_lshlrev_b64 v[22:23], 3, v[26:27]
	v_mov_b32_e32 v24, s11
	v_add_co_u32_e64 v22, s[2:3], s10, v22
	v_addc_co_u32_e64 v23, s[2:3], v24, v23, s[2:3]
	global_load_dwordx2 v[28:29], v[22:23], off
	v_lshlrev_b64 v[22:23], 2, v[26:27]
	v_or_b32_e32 v23, v23, v11
	v_or_b32_e32 v22, v22, v10
	v_lshlrev_b64 v[24:25], 3, v[22:23]
	v_mov_b32_e32 v39, s13
	v_add_co_u32_e64 v26, s[2:3], s12, v24
	v_or_b32_e32 v23, 0, v23
	v_or_b32_e32 v22, s33, v22
	v_addc_co_u32_e64 v27, s[2:3], v39, v25, s[2:3]
	v_lshlrev_b64 v[22:23], 3, v[22:23]
	v_add_co_u32_e64 v40, s[2:3], s12, v22
	v_addc_co_u32_e64 v41, s[2:3], v39, v23, s[2:3]
	global_load_dwordx2 v[22:23], v[26:27], off
	global_load_dwordx2 v[24:25], v[40:41], off
	v_mov_b32_e32 v27, s31
	s_waitcnt vmcnt(2)
	v_subrev_co_u32_e64 v26, s[2:3], s30, v28
	v_subb_co_u32_e64 v27, s[2:3], v29, v27, s[2:3]
	v_lshlrev_b64 v[28:29], 1, v[26:27]
.LBB53_18:                              ;   in Loop: Header=BB53_16 Depth=2
	s_or_b64 exec, exec, s[28:29]
	ds_write_b64 v31, v[28:29]
	s_waitcnt vmcnt(0)
	ds_write2_b64 v32, v[22:23], v[24:25] offset1:1
	s_waitcnt lgkmcnt(0)
	; wave barrier
	s_waitcnt lgkmcnt(0)
	s_and_saveexec_b64 s[28:29], vcc
	s_cbranch_execz .LBB53_15
; %bb.19:                               ;   in Loop: Header=BB53_16 Depth=2
	s_mov_b32 s7, 0
	v_mov_b32_e32 v22, v30
.LBB53_20:                              ;   Parent Loop BB53_13 Depth=1
                                        ;     Parent Loop BB53_16 Depth=2
                                        ; =>    This Inner Loop Header: Depth=3
	v_add_u32_e32 v23, s7, v7
	ds_read_b128 v[24:27], v23
	s_lshl_b64 s[34:35], s[8:9], 3
	v_mov_b32_e32 v23, s35
	s_add_i32 s7, s7, 16
	s_cmp_lg_u32 s7, 64
	s_waitcnt lgkmcnt(0)
	v_mul_lo_u32 v28, v25, s8
	v_mul_lo_u32 v29, v24, s9
	v_mad_u64_u32 v[24:25], s[2:3], v24, s8, 0
	v_add3_u32 v25, v25, v29, v28
	v_mul_lo_u32 v39, v27, s8
	v_mul_lo_u32 v40, v26, s9
	v_mad_u64_u32 v[26:27], s[2:3], v26, s8, 0
	v_lshlrev_b64 v[24:25], 3, v[24:25]
	v_add3_u32 v27, v27, v40, v39
	v_add_co_u32_e64 v24, s[2:3], v37, v24
	v_lshlrev_b64 v[26:27], 3, v[26:27]
	v_addc_co_u32_e64 v25, s[2:3], v38, v25, s[2:3]
	v_add_co_u32_e64 v26, s[2:3], v37, v26
	v_addc_co_u32_e64 v27, s[2:3], v38, v27, s[2:3]
	global_load_dwordx2 v[44:45], v[24:25], off
	v_add_co_u32_e64 v28, s[2:3], s34, v24
	v_addc_co_u32_e64 v29, s[2:3], v25, v23, s[2:3]
	global_load_dwordx2 v[46:47], v[28:29], off
	global_load_dwordx2 v[48:49], v[26:27], off
	v_add_co_u32_e64 v24, s[2:3], s34, v26
	v_addc_co_u32_e64 v25, s[2:3], v27, v23, s[2:3]
	global_load_dwordx2 v[28:29], v[24:25], off
	ds_read_b128 v[24:27], v22
	ds_read2_b64 v[40:43], v22 offset0:3 offset1:4
	v_add_u32_e32 v22, 48, v22
	s_waitcnt lgkmcnt(1)
	v_xor_b32_e32 v50, 0x80000000, v27
	v_mov_b32_e32 v51, v26
	s_waitcnt lgkmcnt(0)
	v_xor_b32_e32 v52, 0x80000000, v43
	v_mov_b32_e32 v53, v42
	s_waitcnt vmcnt(3)
	v_pk_fma_f32 v[18:19], v[24:25], v[44:45], v[18:19] op_sel_hi:[1,0,1]
	v_pk_fma_f32 v[18:19], v[24:25], v[44:45], v[18:19] op_sel:[1,1,0] op_sel_hi:[0,1,1] neg_lo:[1,0,0]
	s_waitcnt vmcnt(2)
	v_pk_fma_f32 v[18:19], v[26:27], v[46:47], v[18:19] op_sel_hi:[1,0,1]
	v_pk_fma_f32 v[18:19], v[50:51], v[46:47], v[18:19] op_sel:[0,1,0]
	s_waitcnt vmcnt(1)
	v_pk_fma_f32 v[18:19], v[40:41], v[48:49], v[18:19] op_sel_hi:[1,0,1]
	v_pk_fma_f32 v[18:19], v[40:41], v[48:49], v[18:19] op_sel:[1,1,0] op_sel_hi:[0,1,1] neg_lo:[1,0,0]
	s_waitcnt vmcnt(0)
	v_pk_fma_f32 v[18:19], v[42:43], v[28:29], v[18:19] op_sel_hi:[1,0,1]
	v_pk_fma_f32 v[18:19], v[52:53], v[28:29], v[18:19] op_sel:[0,1,0]
	s_cbranch_scc1 .LBB53_20
	s_branch .LBB53_15
.LBB53_21:                              ;   in Loop: Header=BB53_13 Depth=1
	s_or_b64 exec, exec, s[26:27]
.LBB53_22:                              ;   in Loop: Header=BB53_13 Depth=1
	s_or_b64 exec, exec, s[24:25]
	v_cmp_gt_i64_e32 vcc, s[18:19], v[16:17]
	s_and_saveexec_b64 s[2:3], vcc
	s_cbranch_execz .LBB53_12
; %bb.23:                               ;   in Loop: Header=BB53_13 Depth=1
	s_and_saveexec_b64 s[24:25], s[4:5]
	s_xor_b64 s[24:25], exec, s[24:25]
	s_cbranch_execz .LBB53_28
; %bb.24:                               ;   in Loop: Header=BB53_13 Depth=1
	s_mov_b64 s[26:27], -1
	s_and_b64 vcc, exec, s[16:17]
	s_cbranch_vccz .LBB53_26
; %bb.25:                               ;   in Loop: Header=BB53_13 Depth=1
	v_lshlrev_b64 v[20:21], 3, v[16:17]
	v_add_co_u32_e32 v20, vcc, v35, v20
	v_addc_co_u32_e32 v21, vcc, v36, v21, vcc
	global_load_dwordx2 v[22:23], v[20:21], off
	v_pk_mul_f32 v[24:25], v[18:19], v[0:1] op_sel:[1,0]
	v_pk_fma_f32 v[24:25], v[2:3], v[18:19], v[24:25] op_sel_hi:[1,0,1]
	s_mov_b64 s[26:27], 0
	s_waitcnt vmcnt(0)
	v_pk_fma_f32 v[24:25], v[4:5], v[22:23], v[24:25] op_sel_hi:[1,0,1]
	v_pk_fma_f32 v[22:23], v[8:9], v[22:23], v[24:25] op_sel:[0,1,0]
	global_store_dwordx2 v[20:21], v[22:23], off
.LBB53_26:                              ;   in Loop: Header=BB53_13 Depth=1
	s_andn2_b64 vcc, exec, s[26:27]
	s_cbranch_vccnz .LBB53_28
; %bb.27:                               ;   in Loop: Header=BB53_13 Depth=1
	v_mul_lo_u32 v20, v17, s22
	v_mul_lo_u32 v21, v16, s23
	v_mad_u64_u32 v[16:17], s[26:27], v16, s22, 0
	v_add3_u32 v17, v17, v21, v20
	v_lshlrev_b64 v[16:17], 3, v[16:17]
	v_add_co_u32_e32 v16, vcc, v33, v16
	v_addc_co_u32_e32 v17, vcc, v34, v17, vcc
	global_load_dwordx2 v[20:21], v[16:17], off
	v_pk_mul_f32 v[22:23], v[18:19], v[0:1] op_sel:[1,0]
	v_pk_fma_f32 v[18:19], v[2:3], v[18:19], v[22:23] op_sel_hi:[1,0,1]
	s_waitcnt vmcnt(0)
	v_pk_fma_f32 v[18:19], v[4:5], v[20:21], v[18:19] op_sel_hi:[1,0,1]
	v_pk_fma_f32 v[18:19], v[8:9], v[20:21], v[18:19] op_sel:[0,1,0]
	global_store_dwordx2 v[16:17], v[18:19], off
                                        ; implicit-def: $vgpr16_vgpr17
                                        ; implicit-def: $vgpr18_vgpr19
.LBB53_28:                              ;   in Loop: Header=BB53_13 Depth=1
	s_andn2_saveexec_b64 s[24:25], s[24:25]
	s_cbranch_execz .LBB53_12
; %bb.29:                               ;   in Loop: Header=BB53_13 Depth=1
	v_pk_mul_f32 v[20:21], v[18:19], v[0:1] op_sel:[1,0]
	v_pk_fma_f32 v[18:19], v[2:3], v[18:19], v[20:21] op_sel_hi:[1,0,1]
	s_mov_b64 s[24:25], -1
	s_and_b64 vcc, exec, s[16:17]
	s_cbranch_vccz .LBB53_31
; %bb.30:                               ;   in Loop: Header=BB53_13 Depth=1
	v_lshlrev_b64 v[20:21], 3, v[16:17]
	v_add_co_u32_e32 v20, vcc, v35, v20
	v_addc_co_u32_e32 v21, vcc, v36, v21, vcc
	global_store_dwordx2 v[20:21], v[18:19], off
	s_mov_b64 s[24:25], 0
.LBB53_31:                              ;   in Loop: Header=BB53_13 Depth=1
	s_andn2_b64 vcc, exec, s[24:25]
	s_cbranch_vccnz .LBB53_12
; %bb.32:                               ;   in Loop: Header=BB53_13 Depth=1
	v_mul_lo_u32 v20, v17, s22
	v_mul_lo_u32 v21, v16, s23
	v_mad_u64_u32 v[16:17], s[24:25], v16, s22, 0
	v_add3_u32 v17, v17, v21, v20
	v_lshlrev_b64 v[16:17], 3, v[16:17]
	v_add_co_u32_e32 v16, vcc, v33, v16
	v_addc_co_u32_e32 v17, vcc, v34, v17, vcc
	global_store_dwordx2 v[16:17], v[18:19], off
	s_branch .LBB53_12
.LBB53_33:
	s_endpgm
.LBB53_34:
	v_pk_mov_b32 v[4:5], s[8:9], s[8:9] op_sel:[0,1]
	flat_load_dword v3, v[4:5] offset:4
	s_and_b64 vcc, exec, s[0:1]
	v_mov_b32_e32 v4, s2
	s_cbranch_vccnz .LBB53_4
.LBB53_35:
	v_pk_mov_b32 v[4:5], s[2:3], s[2:3] op_sel:[0,1]
	flat_load_dword v4, v[4:5]
	s_and_b64 vcc, exec, s[0:1]
	v_mov_b32_e32 v5, s3
	s_cbranch_vccz .LBB53_5
	s_branch .LBB53_6
	.section	.rodata,"a",@progbits
	.p2align	6, 0x0
	.amdhsa_kernel _ZN9rocsparseL29bsrmmnt_small_blockdim_kernelILj64ELj8ELj2Ell21rocsparse_complex_numIfES2_S2_S2_EEv20rocsparse_direction_T3_S4_llNS_24const_host_device_scalarIT7_EEPKT2_PKS4_PKT4_PKT5_llS7_PT6_ll16rocsparse_order_21rocsparse_index_base_b
		.amdhsa_group_segment_fixed_size 2048
		.amdhsa_private_segment_fixed_size 0
		.amdhsa_kernarg_size 400
		.amdhsa_user_sgpr_count 6
		.amdhsa_user_sgpr_private_segment_buffer 1
		.amdhsa_user_sgpr_dispatch_ptr 0
		.amdhsa_user_sgpr_queue_ptr 0
		.amdhsa_user_sgpr_kernarg_segment_ptr 1
		.amdhsa_user_sgpr_dispatch_id 0
		.amdhsa_user_sgpr_flat_scratch_init 0
		.amdhsa_user_sgpr_kernarg_preload_length 0
		.amdhsa_user_sgpr_kernarg_preload_offset 0
		.amdhsa_user_sgpr_private_segment_size 0
		.amdhsa_uses_dynamic_stack 0
		.amdhsa_system_sgpr_private_segment_wavefront_offset 0
		.amdhsa_system_sgpr_workgroup_id_x 1
		.amdhsa_system_sgpr_workgroup_id_y 0
		.amdhsa_system_sgpr_workgroup_id_z 0
		.amdhsa_system_sgpr_workgroup_info 0
		.amdhsa_system_vgpr_workitem_id 0
		.amdhsa_next_free_vgpr 54
		.amdhsa_next_free_sgpr 36
		.amdhsa_accum_offset 56
		.amdhsa_reserve_vcc 1
		.amdhsa_reserve_flat_scratch 0
		.amdhsa_float_round_mode_32 0
		.amdhsa_float_round_mode_16_64 0
		.amdhsa_float_denorm_mode_32 3
		.amdhsa_float_denorm_mode_16_64 3
		.amdhsa_dx10_clamp 1
		.amdhsa_ieee_mode 1
		.amdhsa_fp16_overflow 0
		.amdhsa_tg_split 0
		.amdhsa_exception_fp_ieee_invalid_op 0
		.amdhsa_exception_fp_denorm_src 0
		.amdhsa_exception_fp_ieee_div_zero 0
		.amdhsa_exception_fp_ieee_overflow 0
		.amdhsa_exception_fp_ieee_underflow 0
		.amdhsa_exception_fp_ieee_inexact 0
		.amdhsa_exception_int_div_zero 0
	.end_amdhsa_kernel
	.section	.text._ZN9rocsparseL29bsrmmnt_small_blockdim_kernelILj64ELj8ELj2Ell21rocsparse_complex_numIfES2_S2_S2_EEv20rocsparse_direction_T3_S4_llNS_24const_host_device_scalarIT7_EEPKT2_PKS4_PKT4_PKT5_llS7_PT6_ll16rocsparse_order_21rocsparse_index_base_b,"axG",@progbits,_ZN9rocsparseL29bsrmmnt_small_blockdim_kernelILj64ELj8ELj2Ell21rocsparse_complex_numIfES2_S2_S2_EEv20rocsparse_direction_T3_S4_llNS_24const_host_device_scalarIT7_EEPKT2_PKS4_PKT4_PKT5_llS7_PT6_ll16rocsparse_order_21rocsparse_index_base_b,comdat
.Lfunc_end53:
	.size	_ZN9rocsparseL29bsrmmnt_small_blockdim_kernelILj64ELj8ELj2Ell21rocsparse_complex_numIfES2_S2_S2_EEv20rocsparse_direction_T3_S4_llNS_24const_host_device_scalarIT7_EEPKT2_PKS4_PKT4_PKT5_llS7_PT6_ll16rocsparse_order_21rocsparse_index_base_b, .Lfunc_end53-_ZN9rocsparseL29bsrmmnt_small_blockdim_kernelILj64ELj8ELj2Ell21rocsparse_complex_numIfES2_S2_S2_EEv20rocsparse_direction_T3_S4_llNS_24const_host_device_scalarIT7_EEPKT2_PKS4_PKT4_PKT5_llS7_PT6_ll16rocsparse_order_21rocsparse_index_base_b
                                        ; -- End function
	.section	.AMDGPU.csdata,"",@progbits
; Kernel info:
; codeLenInByte = 1792
; NumSgprs: 40
; NumVgprs: 54
; NumAgprs: 0
; TotalNumVgprs: 54
; ScratchSize: 0
; MemoryBound: 0
; FloatMode: 240
; IeeeMode: 1
; LDSByteSize: 2048 bytes/workgroup (compile time only)
; SGPRBlocks: 4
; VGPRBlocks: 6
; NumSGPRsForWavesPerEU: 40
; NumVGPRsForWavesPerEU: 54
; AccumOffset: 56
; Occupancy: 8
; WaveLimiterHint : 1
; COMPUTE_PGM_RSRC2:SCRATCH_EN: 0
; COMPUTE_PGM_RSRC2:USER_SGPR: 6
; COMPUTE_PGM_RSRC2:TRAP_HANDLER: 0
; COMPUTE_PGM_RSRC2:TGID_X_EN: 1
; COMPUTE_PGM_RSRC2:TGID_Y_EN: 0
; COMPUTE_PGM_RSRC2:TGID_Z_EN: 0
; COMPUTE_PGM_RSRC2:TIDIG_COMP_CNT: 0
; COMPUTE_PGM_RSRC3_GFX90A:ACCUM_OFFSET: 13
; COMPUTE_PGM_RSRC3_GFX90A:TG_SPLIT: 0
	.section	.text._ZN9rocsparseL29bsrmmnt_small_blockdim_kernelILj64ELj16ELj2Ell21rocsparse_complex_numIfES2_S2_S2_EEv20rocsparse_direction_T3_S4_llNS_24const_host_device_scalarIT7_EEPKT2_PKS4_PKT4_PKT5_llS7_PT6_ll16rocsparse_order_21rocsparse_index_base_b,"axG",@progbits,_ZN9rocsparseL29bsrmmnt_small_blockdim_kernelILj64ELj16ELj2Ell21rocsparse_complex_numIfES2_S2_S2_EEv20rocsparse_direction_T3_S4_llNS_24const_host_device_scalarIT7_EEPKT2_PKS4_PKT4_PKT5_llS7_PT6_ll16rocsparse_order_21rocsparse_index_base_b,comdat
	.globl	_ZN9rocsparseL29bsrmmnt_small_blockdim_kernelILj64ELj16ELj2Ell21rocsparse_complex_numIfES2_S2_S2_EEv20rocsparse_direction_T3_S4_llNS_24const_host_device_scalarIT7_EEPKT2_PKS4_PKT4_PKT5_llS7_PT6_ll16rocsparse_order_21rocsparse_index_base_b ; -- Begin function _ZN9rocsparseL29bsrmmnt_small_blockdim_kernelILj64ELj16ELj2Ell21rocsparse_complex_numIfES2_S2_S2_EEv20rocsparse_direction_T3_S4_llNS_24const_host_device_scalarIT7_EEPKT2_PKS4_PKT4_PKT5_llS7_PT6_ll16rocsparse_order_21rocsparse_index_base_b
	.p2align	8
	.type	_ZN9rocsparseL29bsrmmnt_small_blockdim_kernelILj64ELj16ELj2Ell21rocsparse_complex_numIfES2_S2_S2_EEv20rocsparse_direction_T3_S4_llNS_24const_host_device_scalarIT7_EEPKT2_PKS4_PKT4_PKT5_llS7_PT6_ll16rocsparse_order_21rocsparse_index_base_b,@function
_ZN9rocsparseL29bsrmmnt_small_blockdim_kernelILj64ELj16ELj2Ell21rocsparse_complex_numIfES2_S2_S2_EEv20rocsparse_direction_T3_S4_llNS_24const_host_device_scalarIT7_EEPKT2_PKS4_PKT4_PKT5_llS7_PT6_ll16rocsparse_order_21rocsparse_index_base_b: ; @_ZN9rocsparseL29bsrmmnt_small_blockdim_kernelILj64ELj16ELj2Ell21rocsparse_complex_numIfES2_S2_S2_EEv20rocsparse_direction_T3_S4_llNS_24const_host_device_scalarIT7_EEPKT2_PKS4_PKT4_PKT5_llS7_PT6_ll16rocsparse_order_21rocsparse_index_base_b
; %bb.0:
	s_load_dwordx4 s[24:27], s[4:5], 0x80
	s_load_dwordx2 s[8:9], s[4:5], 0x28
	s_load_dwordx2 s[2:3], s[4:5], 0x60
	s_waitcnt lgkmcnt(0)
	s_bitcmp1_b32 s26, 0
	s_cselect_b64 s[0:1], -1, 0
	s_xor_b64 s[10:11], s[0:1], -1
	s_and_b64 vcc, exec, s[0:1]
	v_mov_b32_e32 v2, s8
	s_cbranch_vccnz .LBB54_2
; %bb.1:
	v_pk_mov_b32 v[2:3], s[8:9], s[8:9] op_sel:[0,1]
	flat_load_dword v2, v[2:3]
.LBB54_2:
	v_cndmask_b32_e64 v1, 0, 1, s[10:11]
	v_cmp_ne_u32_e64 s[0:1], 1, v1
	s_andn2_b64 vcc, exec, s[10:11]
	v_mov_b32_e32 v3, s9
	s_cbranch_vccz .LBB54_34
; %bb.3:
	s_and_b64 vcc, exec, s[0:1]
	v_mov_b32_e32 v4, s2
	s_cbranch_vccz .LBB54_35
.LBB54_4:
	s_and_b64 vcc, exec, s[0:1]
	v_mov_b32_e32 v5, s3
	s_cbranch_vccnz .LBB54_6
.LBB54_5:
	v_pk_mov_b32 v[6:7], s[2:3], s[2:3] op_sel:[0,1]
	flat_load_dword v5, v[6:7] offset:4
.LBB54_6:
	s_waitcnt vmcnt(0) lgkmcnt(0)
	v_and_b32_e32 v1, 0x7fffffff, v2
	v_cmp_eq_u32_e32 vcc, 0, v1
	v_cmp_eq_f32_e64 s[0:1], 0, v3
	s_and_b64 s[8:9], vcc, s[0:1]
	s_mov_b64 s[0:1], -1
	s_and_saveexec_b64 s[2:3], s[8:9]
; %bb.7:
	v_and_b32_e32 v1, 0x7fffffff, v5
	v_cmp_neq_f32_e32 vcc, 1.0, v4
	v_cmp_ne_u32_e64 s[0:1], 0, v1
	s_or_b64 s[0:1], vcc, s[0:1]
	s_orn2_b64 s[0:1], s[0:1], exec
; %bb.8:
	s_or_b64 exec, exec, s[2:3]
	s_and_saveexec_b64 s[2:3], s[0:1]
	s_cbranch_execz .LBB54_33
; %bb.9:
	s_load_dword s0, s[4:5], 0x9c
	s_load_dwordx4 s[16:19], s[4:5], 0x8
	v_mov_b32_e32 v7, 0
	s_waitcnt lgkmcnt(0)
	s_and_b32 s0, s0, 0xffff
	s_mul_i32 s6, s6, s0
	v_add_u32_e32 v1, s6, v0
	v_lshrrev_b32_e32 v6, 5, v1
	v_cmp_gt_i64_e32 vcc, s[16:17], v[6:7]
	s_and_b64 exec, exec, vcc
	s_cbranch_execz .LBB54_33
; %bb.10:
	v_cmp_lt_i64_e64 s[0:1], s[18:19], 1
	s_and_b64 vcc, exec, s[0:1]
	s_cbranch_vccnz .LBB54_33
; %bb.11:
	s_load_dwordx8 s[8:15], s[4:5], 0x30
	v_lshlrev_b32_e32 v6, 3, v6
	v_and_b32_e32 v13, 0x7fffffff, v4
	v_cmp_neq_f32_e32 vcc, 0, v5
	v_cmp_ne_u32_e64 s[0:1], 0, v13
	s_waitcnt lgkmcnt(0)
	global_load_dwordx4 v[16:19], v6, s[8:9]
	s_load_dword s2, s[4:5], 0x0
	s_load_dwordx4 s[20:23], s[4:5], 0x68
	s_load_dwordx2 s[8:9], s[4:5], 0x50
	v_and_b32_e32 v6, 15, v0
	v_mul_u32_u24_e32 v13, 3, v6
	s_or_b64 s[4:5], s[0:1], vcc
	v_lshrrev_b32_e32 v15, 4, v1
	v_lshrrev_b32_e32 v12, 4, v0
	v_mov_b32_e32 v7, 0x600
	s_movk_i32 s3, 0x180
	v_lshlrev_b32_e32 v13, 3, v13
	s_cmp_lg_u32 s24, 1
	v_lshl_or_b32 v7, v12, 7, v7
	v_mul_u32_u24_e32 v30, 0x180, v12
	v_mad_u32_u24 v32, v12, s3, v13
	s_cselect_b64 s[16:17], -1, 0
	s_waitcnt lgkmcnt(0)
	s_cmp_eq_u32 s2, 0
	v_mad_u64_u32 v[12:13], s[0:1], v15, s22, 0
	v_mov_b32_e32 v14, v13
	s_cselect_b64 s[0:1], -1, 0
	v_bfe_u32 v10, v1, 4, 1
	v_mov_b32_e32 v11, 0
	v_lshlrev_b32_e32 v20, 3, v15
	v_cndmask_b32_e64 v13, 0, 1, s[0:1]
	v_mad_u64_u32 v[14:15], s[2:3], v15, s23, v[14:15]
	v_mov_b32_e32 v21, s21
	v_add_co_u32_e32 v33, vcc, s20, v20
	v_lshlrev_b64 v[10:11], v13, v[10:11]
	v_mov_b32_e32 v13, v14
	v_addc_co_u32_e32 v34, vcc, 0, v21, vcc
	v_lshlrev_b64 v[12:13], 3, v[12:13]
	v_add_co_u32_e32 v35, vcc, s20, v12
	v_addc_co_u32_e32 v36, vcc, v21, v13, vcc
	s_mov_b32 s6, 0
	s_and_b64 s[0:1], s[0:1], exec
	s_mov_b32 s30, s25
	v_xor_b32_e32 v0, 0x80000000, v3
	v_xor_b32_e32 v8, 0x80000000, v5
	v_mov_b32_e32 v1, v2
	v_mov_b32_e32 v9, v4
	s_mov_b32 s31, s6
	v_lshl_or_b32 v31, v6, 3, v7
	s_cselect_b32 s33, 1, 2
	s_mov_b64 s[20:21], 0
	s_waitcnt vmcnt(0)
	v_subrev_co_u32_e32 v12, vcc, s25, v16
	v_subbrev_co_u32_e32 v13, vcc, 0, v17, vcc
	v_subrev_co_u32_e32 v14, vcc, s25, v18
	v_subbrev_co_u32_e32 v15, vcc, 0, v19, vcc
	v_cmp_lt_i64_e64 s[0:1], v[16:17], v[18:19]
	s_branch .LBB54_13
.LBB54_12:                              ;   in Loop: Header=BB54_13 Depth=1
	s_or_b64 exec, exec, s[2:3]
	s_add_u32 s20, s20, 16
	s_addc_u32 s21, s21, 0
	v_pk_mov_b32 v[16:17], s[18:19], s[18:19] op_sel:[0,1]
	v_cmp_lt_i64_e32 vcc, s[20:21], v[16:17]
	s_cbranch_vccz .LBB54_33
.LBB54_13:                              ; =>This Loop Header: Depth=1
                                        ;     Child Loop BB54_16 Depth 2
                                        ;       Child Loop BB54_20 Depth 3
	s_mov_b32 s7, s6
	v_or_b32_e64 v17, s21, 0
	v_or_b32_e32 v16, s20, v6
	v_pk_mov_b32 v[18:19], s[6:7], s[6:7] op_sel:[0,1]
	s_and_saveexec_b64 s[24:25], s[0:1]
	s_cbranch_execz .LBB54_22
; %bb.14:                               ;   in Loop: Header=BB54_13 Depth=1
	v_lshlrev_b64 v[18:19], 3, v[16:17]
	v_mov_b32_e32 v20, s15
	v_add_co_u32_e64 v37, s[2:3], s14, v18
	v_cmp_gt_i64_e32 vcc, s[18:19], v[16:17]
	v_addc_co_u32_e64 v38, s[2:3], v20, v19, s[2:3]
	s_mov_b64 s[26:27], 0
	v_pk_mov_b32 v[18:19], s[6:7], s[6:7] op_sel:[0,1]
	v_pk_mov_b32 v[20:21], v[12:13], v[12:13] op_sel:[0,1]
	s_branch .LBB54_16
.LBB54_15:                              ;   in Loop: Header=BB54_16 Depth=2
	s_or_b64 exec, exec, s[28:29]
	v_add_co_u32_e64 v20, s[2:3], 16, v20
	v_addc_co_u32_e64 v21, s[2:3], 0, v21, s[2:3]
	v_cmp_ge_i64_e64 s[2:3], v[20:21], v[14:15]
	s_or_b64 s[26:27], s[2:3], s[26:27]
	s_andn2_b64 exec, exec, s[26:27]
	s_cbranch_execz .LBB54_21
.LBB54_16:                              ;   Parent Loop BB54_13 Depth=1
                                        ; =>  This Loop Header: Depth=2
                                        ;       Child Loop BB54_20 Depth 3
	v_add_co_u32_e64 v26, s[2:3], v20, v6
	v_addc_co_u32_e64 v27, s[2:3], 0, v21, s[2:3]
	v_cmp_lt_i64_e64 s[2:3], v[26:27], v[14:15]
	v_pk_mov_b32 v[28:29], 0, 0
	v_mov_b32_e32 v22, 0
	v_mov_b32_e32 v23, 0
	;; [unrolled: 1-line block ×4, first 2 shown]
	s_and_saveexec_b64 s[28:29], s[2:3]
	s_cbranch_execz .LBB54_18
; %bb.17:                               ;   in Loop: Header=BB54_16 Depth=2
	v_lshlrev_b64 v[22:23], 3, v[26:27]
	v_mov_b32_e32 v24, s11
	v_add_co_u32_e64 v22, s[2:3], s10, v22
	v_addc_co_u32_e64 v23, s[2:3], v24, v23, s[2:3]
	global_load_dwordx2 v[28:29], v[22:23], off
	v_lshlrev_b64 v[22:23], 2, v[26:27]
	v_or_b32_e32 v23, v23, v11
	v_or_b32_e32 v22, v22, v10
	v_lshlrev_b64 v[24:25], 3, v[22:23]
	v_mov_b32_e32 v39, s13
	v_add_co_u32_e64 v26, s[2:3], s12, v24
	v_or_b32_e32 v23, 0, v23
	v_or_b32_e32 v22, s33, v22
	v_addc_co_u32_e64 v27, s[2:3], v39, v25, s[2:3]
	v_lshlrev_b64 v[22:23], 3, v[22:23]
	v_add_co_u32_e64 v40, s[2:3], s12, v22
	v_addc_co_u32_e64 v41, s[2:3], v39, v23, s[2:3]
	global_load_dwordx2 v[22:23], v[26:27], off
	global_load_dwordx2 v[24:25], v[40:41], off
	v_mov_b32_e32 v27, s31
	s_waitcnt vmcnt(2)
	v_subrev_co_u32_e64 v26, s[2:3], s30, v28
	v_subb_co_u32_e64 v27, s[2:3], v29, v27, s[2:3]
	v_lshlrev_b64 v[28:29], 1, v[26:27]
.LBB54_18:                              ;   in Loop: Header=BB54_16 Depth=2
	s_or_b64 exec, exec, s[28:29]
	ds_write_b64 v31, v[28:29]
	s_waitcnt vmcnt(0)
	ds_write2_b64 v32, v[22:23], v[24:25] offset1:1
	s_waitcnt lgkmcnt(0)
	; wave barrier
	s_waitcnt lgkmcnt(0)
	s_and_saveexec_b64 s[28:29], vcc
	s_cbranch_execz .LBB54_15
; %bb.19:                               ;   in Loop: Header=BB54_16 Depth=2
	s_mov_b32 s7, 0
	v_mov_b32_e32 v22, v30
.LBB54_20:                              ;   Parent Loop BB54_13 Depth=1
                                        ;     Parent Loop BB54_16 Depth=2
                                        ; =>    This Inner Loop Header: Depth=3
	v_add_u32_e32 v23, s7, v7
	ds_read_b128 v[24:27], v23
	s_lshl_b64 s[34:35], s[8:9], 3
	v_mov_b32_e32 v23, s35
	s_add_i32 s7, s7, 16
	s_cmpk_lg_i32 s7, 0x80
	s_waitcnt lgkmcnt(0)
	v_mul_lo_u32 v28, v25, s8
	v_mul_lo_u32 v29, v24, s9
	v_mad_u64_u32 v[24:25], s[2:3], v24, s8, 0
	v_add3_u32 v25, v25, v29, v28
	v_mul_lo_u32 v39, v27, s8
	v_mul_lo_u32 v40, v26, s9
	v_mad_u64_u32 v[26:27], s[2:3], v26, s8, 0
	v_lshlrev_b64 v[24:25], 3, v[24:25]
	v_add3_u32 v27, v27, v40, v39
	v_add_co_u32_e64 v24, s[2:3], v37, v24
	v_lshlrev_b64 v[26:27], 3, v[26:27]
	v_addc_co_u32_e64 v25, s[2:3], v38, v25, s[2:3]
	v_add_co_u32_e64 v26, s[2:3], v37, v26
	v_addc_co_u32_e64 v27, s[2:3], v38, v27, s[2:3]
	global_load_dwordx2 v[44:45], v[24:25], off
	v_add_co_u32_e64 v28, s[2:3], s34, v24
	v_addc_co_u32_e64 v29, s[2:3], v25, v23, s[2:3]
	global_load_dwordx2 v[46:47], v[28:29], off
	global_load_dwordx2 v[48:49], v[26:27], off
	v_add_co_u32_e64 v24, s[2:3], s34, v26
	v_addc_co_u32_e64 v25, s[2:3], v27, v23, s[2:3]
	global_load_dwordx2 v[28:29], v[24:25], off
	ds_read_b128 v[24:27], v22
	ds_read2_b64 v[40:43], v22 offset0:3 offset1:4
	v_add_u32_e32 v22, 48, v22
	s_waitcnt lgkmcnt(1)
	v_xor_b32_e32 v50, 0x80000000, v27
	v_mov_b32_e32 v51, v26
	s_waitcnt lgkmcnt(0)
	v_xor_b32_e32 v52, 0x80000000, v43
	v_mov_b32_e32 v53, v42
	s_waitcnt vmcnt(3)
	v_pk_fma_f32 v[18:19], v[24:25], v[44:45], v[18:19] op_sel_hi:[1,0,1]
	v_pk_fma_f32 v[18:19], v[24:25], v[44:45], v[18:19] op_sel:[1,1,0] op_sel_hi:[0,1,1] neg_lo:[1,0,0]
	s_waitcnt vmcnt(2)
	v_pk_fma_f32 v[18:19], v[26:27], v[46:47], v[18:19] op_sel_hi:[1,0,1]
	v_pk_fma_f32 v[18:19], v[50:51], v[46:47], v[18:19] op_sel:[0,1,0]
	s_waitcnt vmcnt(1)
	v_pk_fma_f32 v[18:19], v[40:41], v[48:49], v[18:19] op_sel_hi:[1,0,1]
	v_pk_fma_f32 v[18:19], v[40:41], v[48:49], v[18:19] op_sel:[1,1,0] op_sel_hi:[0,1,1] neg_lo:[1,0,0]
	s_waitcnt vmcnt(0)
	v_pk_fma_f32 v[18:19], v[42:43], v[28:29], v[18:19] op_sel_hi:[1,0,1]
	v_pk_fma_f32 v[18:19], v[52:53], v[28:29], v[18:19] op_sel:[0,1,0]
	s_cbranch_scc1 .LBB54_20
	s_branch .LBB54_15
.LBB54_21:                              ;   in Loop: Header=BB54_13 Depth=1
	s_or_b64 exec, exec, s[26:27]
.LBB54_22:                              ;   in Loop: Header=BB54_13 Depth=1
	s_or_b64 exec, exec, s[24:25]
	v_cmp_gt_i64_e32 vcc, s[18:19], v[16:17]
	s_and_saveexec_b64 s[2:3], vcc
	s_cbranch_execz .LBB54_12
; %bb.23:                               ;   in Loop: Header=BB54_13 Depth=1
	s_and_saveexec_b64 s[24:25], s[4:5]
	s_xor_b64 s[24:25], exec, s[24:25]
	s_cbranch_execz .LBB54_28
; %bb.24:                               ;   in Loop: Header=BB54_13 Depth=1
	s_mov_b64 s[26:27], -1
	s_and_b64 vcc, exec, s[16:17]
	s_cbranch_vccz .LBB54_26
; %bb.25:                               ;   in Loop: Header=BB54_13 Depth=1
	v_lshlrev_b64 v[20:21], 3, v[16:17]
	v_add_co_u32_e32 v20, vcc, v35, v20
	v_addc_co_u32_e32 v21, vcc, v36, v21, vcc
	global_load_dwordx2 v[22:23], v[20:21], off
	v_pk_mul_f32 v[24:25], v[18:19], v[0:1] op_sel:[1,0]
	v_pk_fma_f32 v[24:25], v[2:3], v[18:19], v[24:25] op_sel_hi:[1,0,1]
	s_mov_b64 s[26:27], 0
	s_waitcnt vmcnt(0)
	v_pk_fma_f32 v[24:25], v[4:5], v[22:23], v[24:25] op_sel_hi:[1,0,1]
	v_pk_fma_f32 v[22:23], v[8:9], v[22:23], v[24:25] op_sel:[0,1,0]
	global_store_dwordx2 v[20:21], v[22:23], off
.LBB54_26:                              ;   in Loop: Header=BB54_13 Depth=1
	s_andn2_b64 vcc, exec, s[26:27]
	s_cbranch_vccnz .LBB54_28
; %bb.27:                               ;   in Loop: Header=BB54_13 Depth=1
	v_mul_lo_u32 v20, v17, s22
	v_mul_lo_u32 v21, v16, s23
	v_mad_u64_u32 v[16:17], s[26:27], v16, s22, 0
	v_add3_u32 v17, v17, v21, v20
	v_lshlrev_b64 v[16:17], 3, v[16:17]
	v_add_co_u32_e32 v16, vcc, v33, v16
	v_addc_co_u32_e32 v17, vcc, v34, v17, vcc
	global_load_dwordx2 v[20:21], v[16:17], off
	v_pk_mul_f32 v[22:23], v[18:19], v[0:1] op_sel:[1,0]
	v_pk_fma_f32 v[18:19], v[2:3], v[18:19], v[22:23] op_sel_hi:[1,0,1]
	s_waitcnt vmcnt(0)
	v_pk_fma_f32 v[18:19], v[4:5], v[20:21], v[18:19] op_sel_hi:[1,0,1]
	v_pk_fma_f32 v[18:19], v[8:9], v[20:21], v[18:19] op_sel:[0,1,0]
	global_store_dwordx2 v[16:17], v[18:19], off
                                        ; implicit-def: $vgpr16_vgpr17
                                        ; implicit-def: $vgpr18_vgpr19
.LBB54_28:                              ;   in Loop: Header=BB54_13 Depth=1
	s_andn2_saveexec_b64 s[24:25], s[24:25]
	s_cbranch_execz .LBB54_12
; %bb.29:                               ;   in Loop: Header=BB54_13 Depth=1
	v_pk_mul_f32 v[20:21], v[18:19], v[0:1] op_sel:[1,0]
	v_pk_fma_f32 v[18:19], v[2:3], v[18:19], v[20:21] op_sel_hi:[1,0,1]
	s_mov_b64 s[24:25], -1
	s_and_b64 vcc, exec, s[16:17]
	s_cbranch_vccz .LBB54_31
; %bb.30:                               ;   in Loop: Header=BB54_13 Depth=1
	v_lshlrev_b64 v[20:21], 3, v[16:17]
	v_add_co_u32_e32 v20, vcc, v35, v20
	v_addc_co_u32_e32 v21, vcc, v36, v21, vcc
	global_store_dwordx2 v[20:21], v[18:19], off
	s_mov_b64 s[24:25], 0
.LBB54_31:                              ;   in Loop: Header=BB54_13 Depth=1
	s_andn2_b64 vcc, exec, s[24:25]
	s_cbranch_vccnz .LBB54_12
; %bb.32:                               ;   in Loop: Header=BB54_13 Depth=1
	v_mul_lo_u32 v20, v17, s22
	v_mul_lo_u32 v21, v16, s23
	v_mad_u64_u32 v[16:17], s[24:25], v16, s22, 0
	v_add3_u32 v17, v17, v21, v20
	v_lshlrev_b64 v[16:17], 3, v[16:17]
	v_add_co_u32_e32 v16, vcc, v33, v16
	v_addc_co_u32_e32 v17, vcc, v34, v17, vcc
	global_store_dwordx2 v[16:17], v[18:19], off
	s_branch .LBB54_12
.LBB54_33:
	s_endpgm
.LBB54_34:
	v_pk_mov_b32 v[4:5], s[8:9], s[8:9] op_sel:[0,1]
	flat_load_dword v3, v[4:5] offset:4
	s_and_b64 vcc, exec, s[0:1]
	v_mov_b32_e32 v4, s2
	s_cbranch_vccnz .LBB54_4
.LBB54_35:
	v_pk_mov_b32 v[4:5], s[2:3], s[2:3] op_sel:[0,1]
	flat_load_dword v4, v[4:5]
	s_and_b64 vcc, exec, s[0:1]
	v_mov_b32_e32 v5, s3
	s_cbranch_vccz .LBB54_5
	s_branch .LBB54_6
	.section	.rodata,"a",@progbits
	.p2align	6, 0x0
	.amdhsa_kernel _ZN9rocsparseL29bsrmmnt_small_blockdim_kernelILj64ELj16ELj2Ell21rocsparse_complex_numIfES2_S2_S2_EEv20rocsparse_direction_T3_S4_llNS_24const_host_device_scalarIT7_EEPKT2_PKS4_PKT4_PKT5_llS7_PT6_ll16rocsparse_order_21rocsparse_index_base_b
		.amdhsa_group_segment_fixed_size 2048
		.amdhsa_private_segment_fixed_size 0
		.amdhsa_kernarg_size 400
		.amdhsa_user_sgpr_count 6
		.amdhsa_user_sgpr_private_segment_buffer 1
		.amdhsa_user_sgpr_dispatch_ptr 0
		.amdhsa_user_sgpr_queue_ptr 0
		.amdhsa_user_sgpr_kernarg_segment_ptr 1
		.amdhsa_user_sgpr_dispatch_id 0
		.amdhsa_user_sgpr_flat_scratch_init 0
		.amdhsa_user_sgpr_kernarg_preload_length 0
		.amdhsa_user_sgpr_kernarg_preload_offset 0
		.amdhsa_user_sgpr_private_segment_size 0
		.amdhsa_uses_dynamic_stack 0
		.amdhsa_system_sgpr_private_segment_wavefront_offset 0
		.amdhsa_system_sgpr_workgroup_id_x 1
		.amdhsa_system_sgpr_workgroup_id_y 0
		.amdhsa_system_sgpr_workgroup_id_z 0
		.amdhsa_system_sgpr_workgroup_info 0
		.amdhsa_system_vgpr_workitem_id 0
		.amdhsa_next_free_vgpr 54
		.amdhsa_next_free_sgpr 36
		.amdhsa_accum_offset 56
		.amdhsa_reserve_vcc 1
		.amdhsa_reserve_flat_scratch 0
		.amdhsa_float_round_mode_32 0
		.amdhsa_float_round_mode_16_64 0
		.amdhsa_float_denorm_mode_32 3
		.amdhsa_float_denorm_mode_16_64 3
		.amdhsa_dx10_clamp 1
		.amdhsa_ieee_mode 1
		.amdhsa_fp16_overflow 0
		.amdhsa_tg_split 0
		.amdhsa_exception_fp_ieee_invalid_op 0
		.amdhsa_exception_fp_denorm_src 0
		.amdhsa_exception_fp_ieee_div_zero 0
		.amdhsa_exception_fp_ieee_overflow 0
		.amdhsa_exception_fp_ieee_underflow 0
		.amdhsa_exception_fp_ieee_inexact 0
		.amdhsa_exception_int_div_zero 0
	.end_amdhsa_kernel
	.section	.text._ZN9rocsparseL29bsrmmnt_small_blockdim_kernelILj64ELj16ELj2Ell21rocsparse_complex_numIfES2_S2_S2_EEv20rocsparse_direction_T3_S4_llNS_24const_host_device_scalarIT7_EEPKT2_PKS4_PKT4_PKT5_llS7_PT6_ll16rocsparse_order_21rocsparse_index_base_b,"axG",@progbits,_ZN9rocsparseL29bsrmmnt_small_blockdim_kernelILj64ELj16ELj2Ell21rocsparse_complex_numIfES2_S2_S2_EEv20rocsparse_direction_T3_S4_llNS_24const_host_device_scalarIT7_EEPKT2_PKS4_PKT4_PKT5_llS7_PT6_ll16rocsparse_order_21rocsparse_index_base_b,comdat
.Lfunc_end54:
	.size	_ZN9rocsparseL29bsrmmnt_small_blockdim_kernelILj64ELj16ELj2Ell21rocsparse_complex_numIfES2_S2_S2_EEv20rocsparse_direction_T3_S4_llNS_24const_host_device_scalarIT7_EEPKT2_PKS4_PKT4_PKT5_llS7_PT6_ll16rocsparse_order_21rocsparse_index_base_b, .Lfunc_end54-_ZN9rocsparseL29bsrmmnt_small_blockdim_kernelILj64ELj16ELj2Ell21rocsparse_complex_numIfES2_S2_S2_EEv20rocsparse_direction_T3_S4_llNS_24const_host_device_scalarIT7_EEPKT2_PKS4_PKT4_PKT5_llS7_PT6_ll16rocsparse_order_21rocsparse_index_base_b
                                        ; -- End function
	.section	.AMDGPU.csdata,"",@progbits
; Kernel info:
; codeLenInByte = 1792
; NumSgprs: 40
; NumVgprs: 54
; NumAgprs: 0
; TotalNumVgprs: 54
; ScratchSize: 0
; MemoryBound: 0
; FloatMode: 240
; IeeeMode: 1
; LDSByteSize: 2048 bytes/workgroup (compile time only)
; SGPRBlocks: 4
; VGPRBlocks: 6
; NumSGPRsForWavesPerEU: 40
; NumVGPRsForWavesPerEU: 54
; AccumOffset: 56
; Occupancy: 8
; WaveLimiterHint : 1
; COMPUTE_PGM_RSRC2:SCRATCH_EN: 0
; COMPUTE_PGM_RSRC2:USER_SGPR: 6
; COMPUTE_PGM_RSRC2:TRAP_HANDLER: 0
; COMPUTE_PGM_RSRC2:TGID_X_EN: 1
; COMPUTE_PGM_RSRC2:TGID_Y_EN: 0
; COMPUTE_PGM_RSRC2:TGID_Z_EN: 0
; COMPUTE_PGM_RSRC2:TIDIG_COMP_CNT: 0
; COMPUTE_PGM_RSRC3_GFX90A:ACCUM_OFFSET: 13
; COMPUTE_PGM_RSRC3_GFX90A:TG_SPLIT: 0
	.section	.text._ZN9rocsparseL29bsrmmnt_small_blockdim_kernelILj64ELj32ELj2Ell21rocsparse_complex_numIfES2_S2_S2_EEv20rocsparse_direction_T3_S4_llNS_24const_host_device_scalarIT7_EEPKT2_PKS4_PKT4_PKT5_llS7_PT6_ll16rocsparse_order_21rocsparse_index_base_b,"axG",@progbits,_ZN9rocsparseL29bsrmmnt_small_blockdim_kernelILj64ELj32ELj2Ell21rocsparse_complex_numIfES2_S2_S2_EEv20rocsparse_direction_T3_S4_llNS_24const_host_device_scalarIT7_EEPKT2_PKS4_PKT4_PKT5_llS7_PT6_ll16rocsparse_order_21rocsparse_index_base_b,comdat
	.globl	_ZN9rocsparseL29bsrmmnt_small_blockdim_kernelILj64ELj32ELj2Ell21rocsparse_complex_numIfES2_S2_S2_EEv20rocsparse_direction_T3_S4_llNS_24const_host_device_scalarIT7_EEPKT2_PKS4_PKT4_PKT5_llS7_PT6_ll16rocsparse_order_21rocsparse_index_base_b ; -- Begin function _ZN9rocsparseL29bsrmmnt_small_blockdim_kernelILj64ELj32ELj2Ell21rocsparse_complex_numIfES2_S2_S2_EEv20rocsparse_direction_T3_S4_llNS_24const_host_device_scalarIT7_EEPKT2_PKS4_PKT4_PKT5_llS7_PT6_ll16rocsparse_order_21rocsparse_index_base_b
	.p2align	8
	.type	_ZN9rocsparseL29bsrmmnt_small_blockdim_kernelILj64ELj32ELj2Ell21rocsparse_complex_numIfES2_S2_S2_EEv20rocsparse_direction_T3_S4_llNS_24const_host_device_scalarIT7_EEPKT2_PKS4_PKT4_PKT5_llS7_PT6_ll16rocsparse_order_21rocsparse_index_base_b,@function
_ZN9rocsparseL29bsrmmnt_small_blockdim_kernelILj64ELj32ELj2Ell21rocsparse_complex_numIfES2_S2_S2_EEv20rocsparse_direction_T3_S4_llNS_24const_host_device_scalarIT7_EEPKT2_PKS4_PKT4_PKT5_llS7_PT6_ll16rocsparse_order_21rocsparse_index_base_b: ; @_ZN9rocsparseL29bsrmmnt_small_blockdim_kernelILj64ELj32ELj2Ell21rocsparse_complex_numIfES2_S2_S2_EEv20rocsparse_direction_T3_S4_llNS_24const_host_device_scalarIT7_EEPKT2_PKS4_PKT4_PKT5_llS7_PT6_ll16rocsparse_order_21rocsparse_index_base_b
; %bb.0:
	s_load_dwordx4 s[24:27], s[4:5], 0x80
	s_load_dwordx2 s[8:9], s[4:5], 0x28
	s_load_dwordx2 s[2:3], s[4:5], 0x60
	s_waitcnt lgkmcnt(0)
	s_bitcmp1_b32 s26, 0
	s_cselect_b64 s[0:1], -1, 0
	s_xor_b64 s[10:11], s[0:1], -1
	s_and_b64 vcc, exec, s[0:1]
	v_mov_b32_e32 v2, s8
	s_cbranch_vccnz .LBB55_2
; %bb.1:
	v_pk_mov_b32 v[2:3], s[8:9], s[8:9] op_sel:[0,1]
	flat_load_dword v2, v[2:3]
.LBB55_2:
	v_cndmask_b32_e64 v1, 0, 1, s[10:11]
	v_cmp_ne_u32_e64 s[0:1], 1, v1
	s_andn2_b64 vcc, exec, s[10:11]
	v_mov_b32_e32 v3, s9
	s_cbranch_vccz .LBB55_34
; %bb.3:
	s_and_b64 vcc, exec, s[0:1]
	v_mov_b32_e32 v4, s2
	s_cbranch_vccz .LBB55_35
.LBB55_4:
	s_and_b64 vcc, exec, s[0:1]
	v_mov_b32_e32 v5, s3
	s_cbranch_vccnz .LBB55_6
.LBB55_5:
	v_pk_mov_b32 v[6:7], s[2:3], s[2:3] op_sel:[0,1]
	flat_load_dword v5, v[6:7] offset:4
.LBB55_6:
	s_waitcnt vmcnt(0) lgkmcnt(0)
	v_and_b32_e32 v1, 0x7fffffff, v2
	v_cmp_eq_u32_e32 vcc, 0, v1
	v_cmp_eq_f32_e64 s[0:1], 0, v3
	s_and_b64 s[8:9], vcc, s[0:1]
	s_mov_b64 s[0:1], -1
	s_and_saveexec_b64 s[2:3], s[8:9]
; %bb.7:
	v_and_b32_e32 v1, 0x7fffffff, v5
	v_cmp_neq_f32_e32 vcc, 1.0, v4
	v_cmp_ne_u32_e64 s[0:1], 0, v1
	s_or_b64 s[0:1], vcc, s[0:1]
	s_orn2_b64 s[0:1], s[0:1], exec
; %bb.8:
	s_or_b64 exec, exec, s[2:3]
	s_and_saveexec_b64 s[2:3], s[0:1]
	s_cbranch_execz .LBB55_33
; %bb.9:
	s_load_dword s0, s[4:5], 0x9c
	s_load_dwordx4 s[16:19], s[4:5], 0x8
	v_mov_b32_e32 v7, 0
	s_waitcnt lgkmcnt(0)
	s_and_b32 s0, s0, 0xffff
	s_mul_i32 s6, s6, s0
	v_add_u32_e32 v1, s6, v0
	v_lshrrev_b32_e32 v6, 6, v1
	v_cmp_gt_i64_e32 vcc, s[16:17], v[6:7]
	s_and_b64 exec, exec, vcc
	s_cbranch_execz .LBB55_33
; %bb.10:
	v_cmp_lt_i64_e64 s[0:1], s[18:19], 1
	s_and_b64 vcc, exec, s[0:1]
	s_cbranch_vccnz .LBB55_33
; %bb.11:
	s_load_dwordx8 s[8:15], s[4:5], 0x30
	v_lshlrev_b32_e32 v6, 3, v6
	v_and_b32_e32 v13, 0x7fffffff, v4
	v_cmp_neq_f32_e32 vcc, 0, v5
	v_cmp_ne_u32_e64 s[0:1], 0, v13
	s_waitcnt lgkmcnt(0)
	global_load_dwordx4 v[16:19], v6, s[8:9]
	s_load_dword s2, s[4:5], 0x0
	s_load_dwordx4 s[20:23], s[4:5], 0x68
	s_load_dwordx2 s[8:9], s[4:5], 0x50
	v_and_b32_e32 v6, 31, v0
	v_mul_u32_u24_e32 v13, 3, v6
	s_or_b64 s[4:5], s[0:1], vcc
	v_lshrrev_b32_e32 v15, 5, v1
	v_lshrrev_b32_e32 v12, 5, v0
	v_mov_b32_e32 v7, 0x600
	s_movk_i32 s3, 0x300
	v_lshlrev_b32_e32 v13, 3, v13
	s_cmp_lg_u32 s24, 1
	v_lshl_or_b32 v7, v12, 8, v7
	v_mul_u32_u24_e32 v30, 0x300, v12
	v_mad_u32_u24 v32, v12, s3, v13
	s_cselect_b64 s[16:17], -1, 0
	s_waitcnt lgkmcnt(0)
	s_cmp_eq_u32 s2, 0
	v_mad_u64_u32 v[12:13], s[0:1], v15, s22, 0
	v_mov_b32_e32 v14, v13
	s_cselect_b64 s[0:1], -1, 0
	v_bfe_u32 v10, v1, 5, 1
	v_mov_b32_e32 v11, 0
	v_lshlrev_b32_e32 v20, 3, v15
	v_cndmask_b32_e64 v13, 0, 1, s[0:1]
	v_mad_u64_u32 v[14:15], s[2:3], v15, s23, v[14:15]
	v_mov_b32_e32 v21, s21
	v_add_co_u32_e32 v33, vcc, s20, v20
	v_lshlrev_b64 v[10:11], v13, v[10:11]
	v_mov_b32_e32 v13, v14
	v_addc_co_u32_e32 v34, vcc, 0, v21, vcc
	v_lshlrev_b64 v[12:13], 3, v[12:13]
	v_add_co_u32_e32 v35, vcc, s20, v12
	v_addc_co_u32_e32 v36, vcc, v21, v13, vcc
	s_mov_b32 s6, 0
	s_and_b64 s[0:1], s[0:1], exec
	s_mov_b32 s30, s25
	v_xor_b32_e32 v0, 0x80000000, v3
	v_xor_b32_e32 v8, 0x80000000, v5
	v_mov_b32_e32 v1, v2
	v_mov_b32_e32 v9, v4
	s_mov_b32 s31, s6
	v_lshl_or_b32 v31, v6, 3, v7
	s_cselect_b32 s33, 1, 2
	s_mov_b64 s[20:21], 0
	s_waitcnt vmcnt(0)
	v_subrev_co_u32_e32 v12, vcc, s25, v16
	v_subbrev_co_u32_e32 v13, vcc, 0, v17, vcc
	v_subrev_co_u32_e32 v14, vcc, s25, v18
	v_subbrev_co_u32_e32 v15, vcc, 0, v19, vcc
	v_cmp_lt_i64_e64 s[0:1], v[16:17], v[18:19]
	s_branch .LBB55_13
.LBB55_12:                              ;   in Loop: Header=BB55_13 Depth=1
	s_or_b64 exec, exec, s[2:3]
	s_add_u32 s20, s20, 32
	s_addc_u32 s21, s21, 0
	v_pk_mov_b32 v[16:17], s[18:19], s[18:19] op_sel:[0,1]
	v_cmp_lt_i64_e32 vcc, s[20:21], v[16:17]
	s_cbranch_vccz .LBB55_33
.LBB55_13:                              ; =>This Loop Header: Depth=1
                                        ;     Child Loop BB55_16 Depth 2
                                        ;       Child Loop BB55_20 Depth 3
	s_mov_b32 s7, s6
	v_or_b32_e64 v17, s21, 0
	v_or_b32_e32 v16, s20, v6
	v_pk_mov_b32 v[18:19], s[6:7], s[6:7] op_sel:[0,1]
	s_and_saveexec_b64 s[24:25], s[0:1]
	s_cbranch_execz .LBB55_22
; %bb.14:                               ;   in Loop: Header=BB55_13 Depth=1
	v_lshlrev_b64 v[18:19], 3, v[16:17]
	v_mov_b32_e32 v20, s15
	v_add_co_u32_e64 v37, s[2:3], s14, v18
	v_cmp_gt_i64_e32 vcc, s[18:19], v[16:17]
	v_addc_co_u32_e64 v38, s[2:3], v20, v19, s[2:3]
	s_mov_b64 s[26:27], 0
	v_pk_mov_b32 v[18:19], s[6:7], s[6:7] op_sel:[0,1]
	v_pk_mov_b32 v[20:21], v[12:13], v[12:13] op_sel:[0,1]
	s_branch .LBB55_16
.LBB55_15:                              ;   in Loop: Header=BB55_16 Depth=2
	s_or_b64 exec, exec, s[28:29]
	v_add_co_u32_e64 v20, s[2:3], 32, v20
	v_addc_co_u32_e64 v21, s[2:3], 0, v21, s[2:3]
	v_cmp_ge_i64_e64 s[2:3], v[20:21], v[14:15]
	s_or_b64 s[26:27], s[2:3], s[26:27]
	s_andn2_b64 exec, exec, s[26:27]
	s_cbranch_execz .LBB55_21
.LBB55_16:                              ;   Parent Loop BB55_13 Depth=1
                                        ; =>  This Loop Header: Depth=2
                                        ;       Child Loop BB55_20 Depth 3
	v_add_co_u32_e64 v26, s[2:3], v20, v6
	v_addc_co_u32_e64 v27, s[2:3], 0, v21, s[2:3]
	v_cmp_lt_i64_e64 s[2:3], v[26:27], v[14:15]
	v_pk_mov_b32 v[28:29], 0, 0
	v_mov_b32_e32 v22, 0
	v_mov_b32_e32 v23, 0
	;; [unrolled: 1-line block ×4, first 2 shown]
	s_and_saveexec_b64 s[28:29], s[2:3]
	s_cbranch_execz .LBB55_18
; %bb.17:                               ;   in Loop: Header=BB55_16 Depth=2
	v_lshlrev_b64 v[22:23], 3, v[26:27]
	v_mov_b32_e32 v24, s11
	v_add_co_u32_e64 v22, s[2:3], s10, v22
	v_addc_co_u32_e64 v23, s[2:3], v24, v23, s[2:3]
	global_load_dwordx2 v[28:29], v[22:23], off
	v_lshlrev_b64 v[22:23], 2, v[26:27]
	v_or_b32_e32 v23, v23, v11
	v_or_b32_e32 v22, v22, v10
	v_lshlrev_b64 v[24:25], 3, v[22:23]
	v_mov_b32_e32 v39, s13
	v_add_co_u32_e64 v26, s[2:3], s12, v24
	v_or_b32_e32 v23, 0, v23
	v_or_b32_e32 v22, s33, v22
	v_addc_co_u32_e64 v27, s[2:3], v39, v25, s[2:3]
	v_lshlrev_b64 v[22:23], 3, v[22:23]
	v_add_co_u32_e64 v40, s[2:3], s12, v22
	v_addc_co_u32_e64 v41, s[2:3], v39, v23, s[2:3]
	global_load_dwordx2 v[22:23], v[26:27], off
	global_load_dwordx2 v[24:25], v[40:41], off
	v_mov_b32_e32 v27, s31
	s_waitcnt vmcnt(2)
	v_subrev_co_u32_e64 v26, s[2:3], s30, v28
	v_subb_co_u32_e64 v27, s[2:3], v29, v27, s[2:3]
	v_lshlrev_b64 v[28:29], 1, v[26:27]
.LBB55_18:                              ;   in Loop: Header=BB55_16 Depth=2
	s_or_b64 exec, exec, s[28:29]
	ds_write_b64 v31, v[28:29]
	s_waitcnt vmcnt(0)
	ds_write2_b64 v32, v[22:23], v[24:25] offset1:1
	s_waitcnt lgkmcnt(0)
	; wave barrier
	s_waitcnt lgkmcnt(0)
	s_and_saveexec_b64 s[28:29], vcc
	s_cbranch_execz .LBB55_15
; %bb.19:                               ;   in Loop: Header=BB55_16 Depth=2
	s_mov_b32 s7, 0
	v_mov_b32_e32 v22, v30
.LBB55_20:                              ;   Parent Loop BB55_13 Depth=1
                                        ;     Parent Loop BB55_16 Depth=2
                                        ; =>    This Inner Loop Header: Depth=3
	v_add_u32_e32 v23, s7, v7
	ds_read_b128 v[24:27], v23
	s_lshl_b64 s[34:35], s[8:9], 3
	v_mov_b32_e32 v23, s35
	s_add_i32 s7, s7, 16
	s_cmpk_lg_i32 s7, 0x100
	s_waitcnt lgkmcnt(0)
	v_mul_lo_u32 v28, v25, s8
	v_mul_lo_u32 v29, v24, s9
	v_mad_u64_u32 v[24:25], s[2:3], v24, s8, 0
	v_add3_u32 v25, v25, v29, v28
	v_mul_lo_u32 v39, v27, s8
	v_mul_lo_u32 v40, v26, s9
	v_mad_u64_u32 v[26:27], s[2:3], v26, s8, 0
	v_lshlrev_b64 v[24:25], 3, v[24:25]
	v_add3_u32 v27, v27, v40, v39
	v_add_co_u32_e64 v24, s[2:3], v37, v24
	v_lshlrev_b64 v[26:27], 3, v[26:27]
	v_addc_co_u32_e64 v25, s[2:3], v38, v25, s[2:3]
	v_add_co_u32_e64 v26, s[2:3], v37, v26
	v_addc_co_u32_e64 v27, s[2:3], v38, v27, s[2:3]
	global_load_dwordx2 v[44:45], v[24:25], off
	v_add_co_u32_e64 v28, s[2:3], s34, v24
	v_addc_co_u32_e64 v29, s[2:3], v25, v23, s[2:3]
	global_load_dwordx2 v[46:47], v[28:29], off
	global_load_dwordx2 v[48:49], v[26:27], off
	v_add_co_u32_e64 v24, s[2:3], s34, v26
	v_addc_co_u32_e64 v25, s[2:3], v27, v23, s[2:3]
	global_load_dwordx2 v[28:29], v[24:25], off
	ds_read_b128 v[24:27], v22
	ds_read2_b64 v[40:43], v22 offset0:3 offset1:4
	v_add_u32_e32 v22, 48, v22
	s_waitcnt lgkmcnt(1)
	v_xor_b32_e32 v50, 0x80000000, v27
	v_mov_b32_e32 v51, v26
	s_waitcnt lgkmcnt(0)
	v_xor_b32_e32 v52, 0x80000000, v43
	v_mov_b32_e32 v53, v42
	s_waitcnt vmcnt(3)
	v_pk_fma_f32 v[18:19], v[24:25], v[44:45], v[18:19] op_sel_hi:[1,0,1]
	v_pk_fma_f32 v[18:19], v[24:25], v[44:45], v[18:19] op_sel:[1,1,0] op_sel_hi:[0,1,1] neg_lo:[1,0,0]
	s_waitcnt vmcnt(2)
	v_pk_fma_f32 v[18:19], v[26:27], v[46:47], v[18:19] op_sel_hi:[1,0,1]
	v_pk_fma_f32 v[18:19], v[50:51], v[46:47], v[18:19] op_sel:[0,1,0]
	s_waitcnt vmcnt(1)
	v_pk_fma_f32 v[18:19], v[40:41], v[48:49], v[18:19] op_sel_hi:[1,0,1]
	v_pk_fma_f32 v[18:19], v[40:41], v[48:49], v[18:19] op_sel:[1,1,0] op_sel_hi:[0,1,1] neg_lo:[1,0,0]
	s_waitcnt vmcnt(0)
	v_pk_fma_f32 v[18:19], v[42:43], v[28:29], v[18:19] op_sel_hi:[1,0,1]
	v_pk_fma_f32 v[18:19], v[52:53], v[28:29], v[18:19] op_sel:[0,1,0]
	s_cbranch_scc1 .LBB55_20
	s_branch .LBB55_15
.LBB55_21:                              ;   in Loop: Header=BB55_13 Depth=1
	s_or_b64 exec, exec, s[26:27]
.LBB55_22:                              ;   in Loop: Header=BB55_13 Depth=1
	s_or_b64 exec, exec, s[24:25]
	v_cmp_gt_i64_e32 vcc, s[18:19], v[16:17]
	s_and_saveexec_b64 s[2:3], vcc
	s_cbranch_execz .LBB55_12
; %bb.23:                               ;   in Loop: Header=BB55_13 Depth=1
	s_and_saveexec_b64 s[24:25], s[4:5]
	s_xor_b64 s[24:25], exec, s[24:25]
	s_cbranch_execz .LBB55_28
; %bb.24:                               ;   in Loop: Header=BB55_13 Depth=1
	s_mov_b64 s[26:27], -1
	s_and_b64 vcc, exec, s[16:17]
	s_cbranch_vccz .LBB55_26
; %bb.25:                               ;   in Loop: Header=BB55_13 Depth=1
	v_lshlrev_b64 v[20:21], 3, v[16:17]
	v_add_co_u32_e32 v20, vcc, v35, v20
	v_addc_co_u32_e32 v21, vcc, v36, v21, vcc
	global_load_dwordx2 v[22:23], v[20:21], off
	v_pk_mul_f32 v[24:25], v[18:19], v[0:1] op_sel:[1,0]
	v_pk_fma_f32 v[24:25], v[2:3], v[18:19], v[24:25] op_sel_hi:[1,0,1]
	s_mov_b64 s[26:27], 0
	s_waitcnt vmcnt(0)
	v_pk_fma_f32 v[24:25], v[4:5], v[22:23], v[24:25] op_sel_hi:[1,0,1]
	v_pk_fma_f32 v[22:23], v[8:9], v[22:23], v[24:25] op_sel:[0,1,0]
	global_store_dwordx2 v[20:21], v[22:23], off
.LBB55_26:                              ;   in Loop: Header=BB55_13 Depth=1
	s_andn2_b64 vcc, exec, s[26:27]
	s_cbranch_vccnz .LBB55_28
; %bb.27:                               ;   in Loop: Header=BB55_13 Depth=1
	v_mul_lo_u32 v20, v17, s22
	v_mul_lo_u32 v21, v16, s23
	v_mad_u64_u32 v[16:17], s[26:27], v16, s22, 0
	v_add3_u32 v17, v17, v21, v20
	v_lshlrev_b64 v[16:17], 3, v[16:17]
	v_add_co_u32_e32 v16, vcc, v33, v16
	v_addc_co_u32_e32 v17, vcc, v34, v17, vcc
	global_load_dwordx2 v[20:21], v[16:17], off
	v_pk_mul_f32 v[22:23], v[18:19], v[0:1] op_sel:[1,0]
	v_pk_fma_f32 v[18:19], v[2:3], v[18:19], v[22:23] op_sel_hi:[1,0,1]
	s_waitcnt vmcnt(0)
	v_pk_fma_f32 v[18:19], v[4:5], v[20:21], v[18:19] op_sel_hi:[1,0,1]
	v_pk_fma_f32 v[18:19], v[8:9], v[20:21], v[18:19] op_sel:[0,1,0]
	global_store_dwordx2 v[16:17], v[18:19], off
                                        ; implicit-def: $vgpr16_vgpr17
                                        ; implicit-def: $vgpr18_vgpr19
.LBB55_28:                              ;   in Loop: Header=BB55_13 Depth=1
	s_andn2_saveexec_b64 s[24:25], s[24:25]
	s_cbranch_execz .LBB55_12
; %bb.29:                               ;   in Loop: Header=BB55_13 Depth=1
	v_pk_mul_f32 v[20:21], v[18:19], v[0:1] op_sel:[1,0]
	v_pk_fma_f32 v[18:19], v[2:3], v[18:19], v[20:21] op_sel_hi:[1,0,1]
	s_mov_b64 s[24:25], -1
	s_and_b64 vcc, exec, s[16:17]
	s_cbranch_vccz .LBB55_31
; %bb.30:                               ;   in Loop: Header=BB55_13 Depth=1
	v_lshlrev_b64 v[20:21], 3, v[16:17]
	v_add_co_u32_e32 v20, vcc, v35, v20
	v_addc_co_u32_e32 v21, vcc, v36, v21, vcc
	global_store_dwordx2 v[20:21], v[18:19], off
	s_mov_b64 s[24:25], 0
.LBB55_31:                              ;   in Loop: Header=BB55_13 Depth=1
	s_andn2_b64 vcc, exec, s[24:25]
	s_cbranch_vccnz .LBB55_12
; %bb.32:                               ;   in Loop: Header=BB55_13 Depth=1
	v_mul_lo_u32 v20, v17, s22
	v_mul_lo_u32 v21, v16, s23
	v_mad_u64_u32 v[16:17], s[24:25], v16, s22, 0
	v_add3_u32 v17, v17, v21, v20
	v_lshlrev_b64 v[16:17], 3, v[16:17]
	v_add_co_u32_e32 v16, vcc, v33, v16
	v_addc_co_u32_e32 v17, vcc, v34, v17, vcc
	global_store_dwordx2 v[16:17], v[18:19], off
	s_branch .LBB55_12
.LBB55_33:
	s_endpgm
.LBB55_34:
	v_pk_mov_b32 v[4:5], s[8:9], s[8:9] op_sel:[0,1]
	flat_load_dword v3, v[4:5] offset:4
	s_and_b64 vcc, exec, s[0:1]
	v_mov_b32_e32 v4, s2
	s_cbranch_vccnz .LBB55_4
.LBB55_35:
	v_pk_mov_b32 v[4:5], s[2:3], s[2:3] op_sel:[0,1]
	flat_load_dword v4, v[4:5]
	s_and_b64 vcc, exec, s[0:1]
	v_mov_b32_e32 v5, s3
	s_cbranch_vccz .LBB55_5
	s_branch .LBB55_6
	.section	.rodata,"a",@progbits
	.p2align	6, 0x0
	.amdhsa_kernel _ZN9rocsparseL29bsrmmnt_small_blockdim_kernelILj64ELj32ELj2Ell21rocsparse_complex_numIfES2_S2_S2_EEv20rocsparse_direction_T3_S4_llNS_24const_host_device_scalarIT7_EEPKT2_PKS4_PKT4_PKT5_llS7_PT6_ll16rocsparse_order_21rocsparse_index_base_b
		.amdhsa_group_segment_fixed_size 2048
		.amdhsa_private_segment_fixed_size 0
		.amdhsa_kernarg_size 400
		.amdhsa_user_sgpr_count 6
		.amdhsa_user_sgpr_private_segment_buffer 1
		.amdhsa_user_sgpr_dispatch_ptr 0
		.amdhsa_user_sgpr_queue_ptr 0
		.amdhsa_user_sgpr_kernarg_segment_ptr 1
		.amdhsa_user_sgpr_dispatch_id 0
		.amdhsa_user_sgpr_flat_scratch_init 0
		.amdhsa_user_sgpr_kernarg_preload_length 0
		.amdhsa_user_sgpr_kernarg_preload_offset 0
		.amdhsa_user_sgpr_private_segment_size 0
		.amdhsa_uses_dynamic_stack 0
		.amdhsa_system_sgpr_private_segment_wavefront_offset 0
		.amdhsa_system_sgpr_workgroup_id_x 1
		.amdhsa_system_sgpr_workgroup_id_y 0
		.amdhsa_system_sgpr_workgroup_id_z 0
		.amdhsa_system_sgpr_workgroup_info 0
		.amdhsa_system_vgpr_workitem_id 0
		.amdhsa_next_free_vgpr 54
		.amdhsa_next_free_sgpr 36
		.amdhsa_accum_offset 56
		.amdhsa_reserve_vcc 1
		.amdhsa_reserve_flat_scratch 0
		.amdhsa_float_round_mode_32 0
		.amdhsa_float_round_mode_16_64 0
		.amdhsa_float_denorm_mode_32 3
		.amdhsa_float_denorm_mode_16_64 3
		.amdhsa_dx10_clamp 1
		.amdhsa_ieee_mode 1
		.amdhsa_fp16_overflow 0
		.amdhsa_tg_split 0
		.amdhsa_exception_fp_ieee_invalid_op 0
		.amdhsa_exception_fp_denorm_src 0
		.amdhsa_exception_fp_ieee_div_zero 0
		.amdhsa_exception_fp_ieee_overflow 0
		.amdhsa_exception_fp_ieee_underflow 0
		.amdhsa_exception_fp_ieee_inexact 0
		.amdhsa_exception_int_div_zero 0
	.end_amdhsa_kernel
	.section	.text._ZN9rocsparseL29bsrmmnt_small_blockdim_kernelILj64ELj32ELj2Ell21rocsparse_complex_numIfES2_S2_S2_EEv20rocsparse_direction_T3_S4_llNS_24const_host_device_scalarIT7_EEPKT2_PKS4_PKT4_PKT5_llS7_PT6_ll16rocsparse_order_21rocsparse_index_base_b,"axG",@progbits,_ZN9rocsparseL29bsrmmnt_small_blockdim_kernelILj64ELj32ELj2Ell21rocsparse_complex_numIfES2_S2_S2_EEv20rocsparse_direction_T3_S4_llNS_24const_host_device_scalarIT7_EEPKT2_PKS4_PKT4_PKT5_llS7_PT6_ll16rocsparse_order_21rocsparse_index_base_b,comdat
.Lfunc_end55:
	.size	_ZN9rocsparseL29bsrmmnt_small_blockdim_kernelILj64ELj32ELj2Ell21rocsparse_complex_numIfES2_S2_S2_EEv20rocsparse_direction_T3_S4_llNS_24const_host_device_scalarIT7_EEPKT2_PKS4_PKT4_PKT5_llS7_PT6_ll16rocsparse_order_21rocsparse_index_base_b, .Lfunc_end55-_ZN9rocsparseL29bsrmmnt_small_blockdim_kernelILj64ELj32ELj2Ell21rocsparse_complex_numIfES2_S2_S2_EEv20rocsparse_direction_T3_S4_llNS_24const_host_device_scalarIT7_EEPKT2_PKS4_PKT4_PKT5_llS7_PT6_ll16rocsparse_order_21rocsparse_index_base_b
                                        ; -- End function
	.section	.AMDGPU.csdata,"",@progbits
; Kernel info:
; codeLenInByte = 1792
; NumSgprs: 40
; NumVgprs: 54
; NumAgprs: 0
; TotalNumVgprs: 54
; ScratchSize: 0
; MemoryBound: 0
; FloatMode: 240
; IeeeMode: 1
; LDSByteSize: 2048 bytes/workgroup (compile time only)
; SGPRBlocks: 4
; VGPRBlocks: 6
; NumSGPRsForWavesPerEU: 40
; NumVGPRsForWavesPerEU: 54
; AccumOffset: 56
; Occupancy: 8
; WaveLimiterHint : 1
; COMPUTE_PGM_RSRC2:SCRATCH_EN: 0
; COMPUTE_PGM_RSRC2:USER_SGPR: 6
; COMPUTE_PGM_RSRC2:TRAP_HANDLER: 0
; COMPUTE_PGM_RSRC2:TGID_X_EN: 1
; COMPUTE_PGM_RSRC2:TGID_Y_EN: 0
; COMPUTE_PGM_RSRC2:TGID_Z_EN: 0
; COMPUTE_PGM_RSRC2:TIDIG_COMP_CNT: 0
; COMPUTE_PGM_RSRC3_GFX90A:ACCUM_OFFSET: 13
; COMPUTE_PGM_RSRC3_GFX90A:TG_SPLIT: 0
	.section	.text._ZN9rocsparseL29bsrmmnt_small_blockdim_kernelILj64ELj64ELj2Ell21rocsparse_complex_numIfES2_S2_S2_EEv20rocsparse_direction_T3_S4_llNS_24const_host_device_scalarIT7_EEPKT2_PKS4_PKT4_PKT5_llS7_PT6_ll16rocsparse_order_21rocsparse_index_base_b,"axG",@progbits,_ZN9rocsparseL29bsrmmnt_small_blockdim_kernelILj64ELj64ELj2Ell21rocsparse_complex_numIfES2_S2_S2_EEv20rocsparse_direction_T3_S4_llNS_24const_host_device_scalarIT7_EEPKT2_PKS4_PKT4_PKT5_llS7_PT6_ll16rocsparse_order_21rocsparse_index_base_b,comdat
	.globl	_ZN9rocsparseL29bsrmmnt_small_blockdim_kernelILj64ELj64ELj2Ell21rocsparse_complex_numIfES2_S2_S2_EEv20rocsparse_direction_T3_S4_llNS_24const_host_device_scalarIT7_EEPKT2_PKS4_PKT4_PKT5_llS7_PT6_ll16rocsparse_order_21rocsparse_index_base_b ; -- Begin function _ZN9rocsparseL29bsrmmnt_small_blockdim_kernelILj64ELj64ELj2Ell21rocsparse_complex_numIfES2_S2_S2_EEv20rocsparse_direction_T3_S4_llNS_24const_host_device_scalarIT7_EEPKT2_PKS4_PKT4_PKT5_llS7_PT6_ll16rocsparse_order_21rocsparse_index_base_b
	.p2align	8
	.type	_ZN9rocsparseL29bsrmmnt_small_blockdim_kernelILj64ELj64ELj2Ell21rocsparse_complex_numIfES2_S2_S2_EEv20rocsparse_direction_T3_S4_llNS_24const_host_device_scalarIT7_EEPKT2_PKS4_PKT4_PKT5_llS7_PT6_ll16rocsparse_order_21rocsparse_index_base_b,@function
_ZN9rocsparseL29bsrmmnt_small_blockdim_kernelILj64ELj64ELj2Ell21rocsparse_complex_numIfES2_S2_S2_EEv20rocsparse_direction_T3_S4_llNS_24const_host_device_scalarIT7_EEPKT2_PKS4_PKT4_PKT5_llS7_PT6_ll16rocsparse_order_21rocsparse_index_base_b: ; @_ZN9rocsparseL29bsrmmnt_small_blockdim_kernelILj64ELj64ELj2Ell21rocsparse_complex_numIfES2_S2_S2_EEv20rocsparse_direction_T3_S4_llNS_24const_host_device_scalarIT7_EEPKT2_PKS4_PKT4_PKT5_llS7_PT6_ll16rocsparse_order_21rocsparse_index_base_b
; %bb.0:
	s_load_dwordx4 s[24:27], s[4:5], 0x80
	s_load_dwordx2 s[8:9], s[4:5], 0x28
	s_load_dwordx2 s[2:3], s[4:5], 0x60
	s_waitcnt lgkmcnt(0)
	s_bitcmp1_b32 s26, 0
	s_cselect_b64 s[0:1], -1, 0
	s_xor_b64 s[10:11], s[0:1], -1
	s_and_b64 vcc, exec, s[0:1]
	v_mov_b32_e32 v2, s8
	s_cbranch_vccnz .LBB56_2
; %bb.1:
	v_pk_mov_b32 v[2:3], s[8:9], s[8:9] op_sel:[0,1]
	flat_load_dword v2, v[2:3]
.LBB56_2:
	v_cndmask_b32_e64 v1, 0, 1, s[10:11]
	v_cmp_ne_u32_e64 s[0:1], 1, v1
	s_andn2_b64 vcc, exec, s[10:11]
	v_mov_b32_e32 v3, s9
	s_cbranch_vccz .LBB56_34
; %bb.3:
	s_and_b64 vcc, exec, s[0:1]
	v_mov_b32_e32 v4, s2
	s_cbranch_vccz .LBB56_35
.LBB56_4:
	s_and_b64 vcc, exec, s[0:1]
	v_mov_b32_e32 v5, s3
	s_cbranch_vccnz .LBB56_6
.LBB56_5:
	v_pk_mov_b32 v[6:7], s[2:3], s[2:3] op_sel:[0,1]
	flat_load_dword v5, v[6:7] offset:4
.LBB56_6:
	s_waitcnt vmcnt(0) lgkmcnt(0)
	v_and_b32_e32 v1, 0x7fffffff, v2
	v_cmp_eq_u32_e32 vcc, 0, v1
	v_cmp_eq_f32_e64 s[0:1], 0, v3
	s_and_b64 s[8:9], vcc, s[0:1]
	s_mov_b64 s[0:1], -1
	s_and_saveexec_b64 s[2:3], s[8:9]
; %bb.7:
	v_and_b32_e32 v1, 0x7fffffff, v5
	v_cmp_neq_f32_e32 vcc, 1.0, v4
	v_cmp_ne_u32_e64 s[0:1], 0, v1
	s_or_b64 s[0:1], vcc, s[0:1]
	s_orn2_b64 s[0:1], s[0:1], exec
; %bb.8:
	s_or_b64 exec, exec, s[2:3]
	s_and_saveexec_b64 s[2:3], s[0:1]
	s_cbranch_execz .LBB56_33
; %bb.9:
	s_load_dword s0, s[4:5], 0x9c
	s_load_dwordx4 s[16:19], s[4:5], 0x8
	v_mov_b32_e32 v7, 0
	s_waitcnt lgkmcnt(0)
	s_and_b32 s0, s0, 0xffff
	s_mul_i32 s6, s6, s0
	v_add_u32_e32 v1, s6, v0
	v_lshrrev_b32_e32 v6, 7, v1
	v_cmp_gt_i64_e32 vcc, s[16:17], v[6:7]
	s_and_b64 exec, exec, vcc
	s_cbranch_execz .LBB56_33
; %bb.10:
	v_cmp_lt_i64_e64 s[0:1], s[18:19], 1
	s_and_b64 vcc, exec, s[0:1]
	s_cbranch_vccnz .LBB56_33
; %bb.11:
	s_load_dwordx8 s[8:15], s[4:5], 0x30
	v_lshlrev_b32_e32 v6, 3, v6
	v_and_b32_e32 v12, 0x7fffffff, v4
	v_cmp_neq_f32_e32 vcc, 0, v5
	v_cmp_ne_u32_e64 s[0:1], 0, v12
	s_waitcnt lgkmcnt(0)
	global_load_dwordx4 v[16:19], v6, s[8:9]
	s_load_dword s2, s[4:5], 0x0
	s_load_dwordx4 s[20:23], s[4:5], 0x68
	s_load_dwordx2 s[8:9], s[4:5], 0x50
	s_or_b64 s[4:5], s[0:1], vcc
	v_lshrrev_b32_e32 v15, 6, v1
	v_mul_u32_u24_e32 v13, 3, v0
	s_cmp_lg_u32 s24, 1
	v_lshlrev_b32_e32 v31, 3, v13
	s_cselect_b64 s[16:17], -1, 0
	s_waitcnt lgkmcnt(0)
	s_cmp_eq_u32 s2, 0
	v_mad_u64_u32 v[12:13], s[0:1], v15, s22, 0
	v_mov_b32_e32 v14, v13
	s_cselect_b64 s[0:1], -1, 0
	v_bfe_u32 v10, v1, 6, 1
	v_mov_b32_e32 v11, 0
	v_lshlrev_b32_e32 v20, 3, v15
	v_cndmask_b32_e64 v13, 0, 1, s[0:1]
	v_mad_u64_u32 v[14:15], s[2:3], v15, s23, v[14:15]
	v_mov_b32_e32 v21, s21
	v_add_co_u32_e32 v32, vcc, s20, v20
	v_lshlrev_b64 v[10:11], v13, v[10:11]
	v_mov_b32_e32 v13, v14
	v_addc_co_u32_e32 v33, vcc, 0, v21, vcc
	v_lshlrev_b64 v[12:13], 3, v[12:13]
	v_add_co_u32_e32 v34, vcc, s20, v12
	v_addc_co_u32_e32 v35, vcc, v21, v13, vcc
	s_mov_b32 s6, 0
	v_mov_b32_e32 v1, 0x600
	s_and_b64 s[0:1], s[0:1], exec
	s_mov_b32 s30, s25
	v_xor_b32_e32 v6, 0x80000000, v3
	v_xor_b32_e32 v8, 0x80000000, v5
	v_mov_b32_e32 v7, v2
	v_mov_b32_e32 v9, v4
	s_mov_b32 s31, s6
	v_lshl_or_b32 v30, v0, 3, v1
	s_cselect_b32 s33, 1, 2
	s_mov_b64 s[20:21], 0
	s_waitcnt vmcnt(0)
	v_subrev_co_u32_e32 v12, vcc, s25, v16
	v_subbrev_co_u32_e32 v13, vcc, 0, v17, vcc
	v_subrev_co_u32_e32 v14, vcc, s25, v18
	v_subbrev_co_u32_e32 v15, vcc, 0, v19, vcc
	v_cmp_lt_i64_e64 s[0:1], v[16:17], v[18:19]
	s_branch .LBB56_13
.LBB56_12:                              ;   in Loop: Header=BB56_13 Depth=1
	s_or_b64 exec, exec, s[2:3]
	s_add_u32 s20, s20, 64
	s_addc_u32 s21, s21, 0
	v_pk_mov_b32 v[16:17], s[18:19], s[18:19] op_sel:[0,1]
	v_cmp_lt_i64_e32 vcc, s[20:21], v[16:17]
	s_cbranch_vccz .LBB56_33
.LBB56_13:                              ; =>This Loop Header: Depth=1
                                        ;     Child Loop BB56_16 Depth 2
                                        ;       Child Loop BB56_20 Depth 3
	s_mov_b32 s7, s6
	v_or_b32_e64 v17, s21, 0
	v_or_b32_e32 v16, s20, v0
	v_pk_mov_b32 v[18:19], s[6:7], s[6:7] op_sel:[0,1]
	s_and_saveexec_b64 s[24:25], s[0:1]
	s_cbranch_execz .LBB56_22
; %bb.14:                               ;   in Loop: Header=BB56_13 Depth=1
	v_lshlrev_b64 v[18:19], 3, v[16:17]
	v_mov_b32_e32 v20, s15
	v_add_co_u32_e64 v36, s[2:3], s14, v18
	v_cmp_gt_i64_e32 vcc, s[18:19], v[16:17]
	v_addc_co_u32_e64 v37, s[2:3], v20, v19, s[2:3]
	s_mov_b64 s[26:27], 0
	v_pk_mov_b32 v[18:19], s[6:7], s[6:7] op_sel:[0,1]
	v_pk_mov_b32 v[20:21], v[12:13], v[12:13] op_sel:[0,1]
	s_branch .LBB56_16
.LBB56_15:                              ;   in Loop: Header=BB56_16 Depth=2
	s_or_b64 exec, exec, s[28:29]
	v_add_co_u32_e64 v20, s[2:3], 64, v20
	v_addc_co_u32_e64 v21, s[2:3], 0, v21, s[2:3]
	v_cmp_ge_i64_e64 s[2:3], v[20:21], v[14:15]
	s_or_b64 s[26:27], s[2:3], s[26:27]
	s_andn2_b64 exec, exec, s[26:27]
	s_cbranch_execz .LBB56_21
.LBB56_16:                              ;   Parent Loop BB56_13 Depth=1
                                        ; =>  This Loop Header: Depth=2
                                        ;       Child Loop BB56_20 Depth 3
	v_add_co_u32_e64 v26, s[2:3], v20, v0
	v_addc_co_u32_e64 v27, s[2:3], 0, v21, s[2:3]
	v_cmp_lt_i64_e64 s[2:3], v[26:27], v[14:15]
	v_pk_mov_b32 v[28:29], 0, 0
	v_mov_b32_e32 v22, 0
	v_mov_b32_e32 v23, 0
	;; [unrolled: 1-line block ×4, first 2 shown]
	s_and_saveexec_b64 s[28:29], s[2:3]
	s_cbranch_execz .LBB56_18
; %bb.17:                               ;   in Loop: Header=BB56_16 Depth=2
	v_lshlrev_b64 v[22:23], 3, v[26:27]
	v_mov_b32_e32 v24, s11
	v_add_co_u32_e64 v22, s[2:3], s10, v22
	v_addc_co_u32_e64 v23, s[2:3], v24, v23, s[2:3]
	global_load_dwordx2 v[28:29], v[22:23], off
	v_lshlrev_b64 v[22:23], 2, v[26:27]
	v_or_b32_e32 v23, v23, v11
	v_or_b32_e32 v22, v22, v10
	v_lshlrev_b64 v[24:25], 3, v[22:23]
	v_mov_b32_e32 v39, s13
	v_add_co_u32_e64 v26, s[2:3], s12, v24
	v_or_b32_e32 v23, 0, v23
	v_or_b32_e32 v22, s33, v22
	v_addc_co_u32_e64 v27, s[2:3], v39, v25, s[2:3]
	v_lshlrev_b64 v[22:23], 3, v[22:23]
	v_add_co_u32_e64 v38, s[2:3], s12, v22
	v_addc_co_u32_e64 v39, s[2:3], v39, v23, s[2:3]
	global_load_dwordx2 v[22:23], v[26:27], off
	global_load_dwordx2 v[24:25], v[38:39], off
	v_mov_b32_e32 v27, s31
	s_waitcnt vmcnt(2)
	v_subrev_co_u32_e64 v26, s[2:3], s30, v28
	v_subb_co_u32_e64 v27, s[2:3], v29, v27, s[2:3]
	v_lshlrev_b64 v[28:29], 1, v[26:27]
.LBB56_18:                              ;   in Loop: Header=BB56_16 Depth=2
	s_or_b64 exec, exec, s[28:29]
	ds_write_b64 v30, v[28:29]
	s_waitcnt vmcnt(0)
	ds_write2_b64 v31, v[22:23], v[24:25] offset1:1
	s_waitcnt lgkmcnt(0)
	; wave barrier
	s_waitcnt lgkmcnt(0)
	s_and_saveexec_b64 s[28:29], vcc
	s_cbranch_execz .LBB56_15
; %bb.19:                               ;   in Loop: Header=BB56_16 Depth=2
	s_mov_b32 s7, 0
	v_mov_b32_e32 v22, 0
.LBB56_20:                              ;   Parent Loop BB56_13 Depth=1
                                        ;     Parent Loop BB56_16 Depth=2
                                        ; =>    This Inner Loop Header: Depth=3
	v_add_u32_e32 v23, s7, v1
	ds_read_b128 v[24:27], v23
	s_lshl_b64 s[34:35], s[8:9], 3
	v_mov_b32_e32 v23, s35
	s_add_i32 s7, s7, 16
	s_cmpk_lg_i32 s7, 0x200
	s_waitcnt lgkmcnt(0)
	v_mul_lo_u32 v28, v25, s8
	v_mul_lo_u32 v29, v24, s9
	v_mad_u64_u32 v[24:25], s[2:3], v24, s8, 0
	v_add3_u32 v25, v25, v29, v28
	v_mul_lo_u32 v38, v27, s8
	v_mul_lo_u32 v39, v26, s9
	v_mad_u64_u32 v[26:27], s[2:3], v26, s8, 0
	v_lshlrev_b64 v[24:25], 3, v[24:25]
	v_add3_u32 v27, v27, v39, v38
	v_add_co_u32_e64 v24, s[2:3], v36, v24
	v_lshlrev_b64 v[26:27], 3, v[26:27]
	v_addc_co_u32_e64 v25, s[2:3], v37, v25, s[2:3]
	v_add_co_u32_e64 v26, s[2:3], v36, v26
	v_addc_co_u32_e64 v27, s[2:3], v37, v27, s[2:3]
	global_load_dwordx2 v[42:43], v[24:25], off
	v_add_co_u32_e64 v28, s[2:3], s34, v24
	v_addc_co_u32_e64 v29, s[2:3], v25, v23, s[2:3]
	global_load_dwordx2 v[44:45], v[28:29], off
	global_load_dwordx2 v[46:47], v[26:27], off
	v_add_co_u32_e64 v24, s[2:3], s34, v26
	v_addc_co_u32_e64 v25, s[2:3], v27, v23, s[2:3]
	global_load_dwordx2 v[28:29], v[24:25], off
	ds_read_b128 v[24:27], v22
	ds_read2_b64 v[38:41], v22 offset0:3 offset1:4
	v_add_u32_e32 v22, 48, v22
	s_waitcnt lgkmcnt(1)
	v_xor_b32_e32 v48, 0x80000000, v27
	v_mov_b32_e32 v49, v26
	s_waitcnt lgkmcnt(0)
	v_xor_b32_e32 v50, 0x80000000, v41
	v_mov_b32_e32 v51, v40
	s_waitcnt vmcnt(3)
	v_pk_fma_f32 v[18:19], v[24:25], v[42:43], v[18:19] op_sel_hi:[1,0,1]
	v_pk_fma_f32 v[18:19], v[24:25], v[42:43], v[18:19] op_sel:[1,1,0] op_sel_hi:[0,1,1] neg_lo:[1,0,0]
	s_waitcnt vmcnt(2)
	v_pk_fma_f32 v[18:19], v[26:27], v[44:45], v[18:19] op_sel_hi:[1,0,1]
	v_pk_fma_f32 v[18:19], v[48:49], v[44:45], v[18:19] op_sel:[0,1,0]
	s_waitcnt vmcnt(1)
	v_pk_fma_f32 v[18:19], v[38:39], v[46:47], v[18:19] op_sel_hi:[1,0,1]
	v_pk_fma_f32 v[18:19], v[38:39], v[46:47], v[18:19] op_sel:[1,1,0] op_sel_hi:[0,1,1] neg_lo:[1,0,0]
	s_waitcnt vmcnt(0)
	v_pk_fma_f32 v[18:19], v[40:41], v[28:29], v[18:19] op_sel_hi:[1,0,1]
	v_pk_fma_f32 v[18:19], v[50:51], v[28:29], v[18:19] op_sel:[0,1,0]
	s_cbranch_scc1 .LBB56_20
	s_branch .LBB56_15
.LBB56_21:                              ;   in Loop: Header=BB56_13 Depth=1
	s_or_b64 exec, exec, s[26:27]
.LBB56_22:                              ;   in Loop: Header=BB56_13 Depth=1
	s_or_b64 exec, exec, s[24:25]
	v_cmp_gt_i64_e32 vcc, s[18:19], v[16:17]
	s_and_saveexec_b64 s[2:3], vcc
	s_cbranch_execz .LBB56_12
; %bb.23:                               ;   in Loop: Header=BB56_13 Depth=1
	s_and_saveexec_b64 s[24:25], s[4:5]
	s_xor_b64 s[24:25], exec, s[24:25]
	s_cbranch_execz .LBB56_28
; %bb.24:                               ;   in Loop: Header=BB56_13 Depth=1
	s_mov_b64 s[26:27], -1
	s_and_b64 vcc, exec, s[16:17]
	s_cbranch_vccz .LBB56_26
; %bb.25:                               ;   in Loop: Header=BB56_13 Depth=1
	v_lshlrev_b64 v[20:21], 3, v[16:17]
	v_add_co_u32_e32 v20, vcc, v34, v20
	v_addc_co_u32_e32 v21, vcc, v35, v21, vcc
	global_load_dwordx2 v[22:23], v[20:21], off
	v_pk_mul_f32 v[24:25], v[18:19], v[6:7] op_sel:[1,0]
	v_pk_fma_f32 v[24:25], v[2:3], v[18:19], v[24:25] op_sel_hi:[1,0,1]
	s_mov_b64 s[26:27], 0
	s_waitcnt vmcnt(0)
	v_pk_fma_f32 v[24:25], v[4:5], v[22:23], v[24:25] op_sel_hi:[1,0,1]
	v_pk_fma_f32 v[22:23], v[8:9], v[22:23], v[24:25] op_sel:[0,1,0]
	global_store_dwordx2 v[20:21], v[22:23], off
.LBB56_26:                              ;   in Loop: Header=BB56_13 Depth=1
	s_andn2_b64 vcc, exec, s[26:27]
	s_cbranch_vccnz .LBB56_28
; %bb.27:                               ;   in Loop: Header=BB56_13 Depth=1
	v_mul_lo_u32 v20, v17, s22
	v_mul_lo_u32 v21, v16, s23
	v_mad_u64_u32 v[16:17], s[26:27], v16, s22, 0
	v_add3_u32 v17, v17, v21, v20
	v_lshlrev_b64 v[16:17], 3, v[16:17]
	v_add_co_u32_e32 v16, vcc, v32, v16
	v_addc_co_u32_e32 v17, vcc, v33, v17, vcc
	global_load_dwordx2 v[20:21], v[16:17], off
	v_pk_mul_f32 v[22:23], v[18:19], v[6:7] op_sel:[1,0]
	v_pk_fma_f32 v[18:19], v[2:3], v[18:19], v[22:23] op_sel_hi:[1,0,1]
	s_waitcnt vmcnt(0)
	v_pk_fma_f32 v[18:19], v[4:5], v[20:21], v[18:19] op_sel_hi:[1,0,1]
	v_pk_fma_f32 v[18:19], v[8:9], v[20:21], v[18:19] op_sel:[0,1,0]
	global_store_dwordx2 v[16:17], v[18:19], off
                                        ; implicit-def: $vgpr16_vgpr17
                                        ; implicit-def: $vgpr18_vgpr19
.LBB56_28:                              ;   in Loop: Header=BB56_13 Depth=1
	s_andn2_saveexec_b64 s[24:25], s[24:25]
	s_cbranch_execz .LBB56_12
; %bb.29:                               ;   in Loop: Header=BB56_13 Depth=1
	v_pk_mul_f32 v[20:21], v[18:19], v[6:7] op_sel:[1,0]
	v_pk_fma_f32 v[18:19], v[2:3], v[18:19], v[20:21] op_sel_hi:[1,0,1]
	s_mov_b64 s[24:25], -1
	s_and_b64 vcc, exec, s[16:17]
	s_cbranch_vccz .LBB56_31
; %bb.30:                               ;   in Loop: Header=BB56_13 Depth=1
	v_lshlrev_b64 v[20:21], 3, v[16:17]
	v_add_co_u32_e32 v20, vcc, v34, v20
	v_addc_co_u32_e32 v21, vcc, v35, v21, vcc
	global_store_dwordx2 v[20:21], v[18:19], off
	s_mov_b64 s[24:25], 0
.LBB56_31:                              ;   in Loop: Header=BB56_13 Depth=1
	s_andn2_b64 vcc, exec, s[24:25]
	s_cbranch_vccnz .LBB56_12
; %bb.32:                               ;   in Loop: Header=BB56_13 Depth=1
	v_mul_lo_u32 v20, v17, s22
	v_mul_lo_u32 v21, v16, s23
	v_mad_u64_u32 v[16:17], s[24:25], v16, s22, 0
	v_add3_u32 v17, v17, v21, v20
	v_lshlrev_b64 v[16:17], 3, v[16:17]
	v_add_co_u32_e32 v16, vcc, v32, v16
	v_addc_co_u32_e32 v17, vcc, v33, v17, vcc
	global_store_dwordx2 v[16:17], v[18:19], off
	s_branch .LBB56_12
.LBB56_33:
	s_endpgm
.LBB56_34:
	v_pk_mov_b32 v[4:5], s[8:9], s[8:9] op_sel:[0,1]
	flat_load_dword v3, v[4:5] offset:4
	s_and_b64 vcc, exec, s[0:1]
	v_mov_b32_e32 v4, s2
	s_cbranch_vccnz .LBB56_4
.LBB56_35:
	v_pk_mov_b32 v[4:5], s[2:3], s[2:3] op_sel:[0,1]
	flat_load_dword v4, v[4:5]
	s_and_b64 vcc, exec, s[0:1]
	v_mov_b32_e32 v5, s3
	s_cbranch_vccz .LBB56_5
	s_branch .LBB56_6
	.section	.rodata,"a",@progbits
	.p2align	6, 0x0
	.amdhsa_kernel _ZN9rocsparseL29bsrmmnt_small_blockdim_kernelILj64ELj64ELj2Ell21rocsparse_complex_numIfES2_S2_S2_EEv20rocsparse_direction_T3_S4_llNS_24const_host_device_scalarIT7_EEPKT2_PKS4_PKT4_PKT5_llS7_PT6_ll16rocsparse_order_21rocsparse_index_base_b
		.amdhsa_group_segment_fixed_size 2048
		.amdhsa_private_segment_fixed_size 0
		.amdhsa_kernarg_size 400
		.amdhsa_user_sgpr_count 6
		.amdhsa_user_sgpr_private_segment_buffer 1
		.amdhsa_user_sgpr_dispatch_ptr 0
		.amdhsa_user_sgpr_queue_ptr 0
		.amdhsa_user_sgpr_kernarg_segment_ptr 1
		.amdhsa_user_sgpr_dispatch_id 0
		.amdhsa_user_sgpr_flat_scratch_init 0
		.amdhsa_user_sgpr_kernarg_preload_length 0
		.amdhsa_user_sgpr_kernarg_preload_offset 0
		.amdhsa_user_sgpr_private_segment_size 0
		.amdhsa_uses_dynamic_stack 0
		.amdhsa_system_sgpr_private_segment_wavefront_offset 0
		.amdhsa_system_sgpr_workgroup_id_x 1
		.amdhsa_system_sgpr_workgroup_id_y 0
		.amdhsa_system_sgpr_workgroup_id_z 0
		.amdhsa_system_sgpr_workgroup_info 0
		.amdhsa_system_vgpr_workitem_id 0
		.amdhsa_next_free_vgpr 52
		.amdhsa_next_free_sgpr 36
		.amdhsa_accum_offset 52
		.amdhsa_reserve_vcc 1
		.amdhsa_reserve_flat_scratch 0
		.amdhsa_float_round_mode_32 0
		.amdhsa_float_round_mode_16_64 0
		.amdhsa_float_denorm_mode_32 3
		.amdhsa_float_denorm_mode_16_64 3
		.amdhsa_dx10_clamp 1
		.amdhsa_ieee_mode 1
		.amdhsa_fp16_overflow 0
		.amdhsa_tg_split 0
		.amdhsa_exception_fp_ieee_invalid_op 0
		.amdhsa_exception_fp_denorm_src 0
		.amdhsa_exception_fp_ieee_div_zero 0
		.amdhsa_exception_fp_ieee_overflow 0
		.amdhsa_exception_fp_ieee_underflow 0
		.amdhsa_exception_fp_ieee_inexact 0
		.amdhsa_exception_int_div_zero 0
	.end_amdhsa_kernel
	.section	.text._ZN9rocsparseL29bsrmmnt_small_blockdim_kernelILj64ELj64ELj2Ell21rocsparse_complex_numIfES2_S2_S2_EEv20rocsparse_direction_T3_S4_llNS_24const_host_device_scalarIT7_EEPKT2_PKS4_PKT4_PKT5_llS7_PT6_ll16rocsparse_order_21rocsparse_index_base_b,"axG",@progbits,_ZN9rocsparseL29bsrmmnt_small_blockdim_kernelILj64ELj64ELj2Ell21rocsparse_complex_numIfES2_S2_S2_EEv20rocsparse_direction_T3_S4_llNS_24const_host_device_scalarIT7_EEPKT2_PKS4_PKT4_PKT5_llS7_PT6_ll16rocsparse_order_21rocsparse_index_base_b,comdat
.Lfunc_end56:
	.size	_ZN9rocsparseL29bsrmmnt_small_blockdim_kernelILj64ELj64ELj2Ell21rocsparse_complex_numIfES2_S2_S2_EEv20rocsparse_direction_T3_S4_llNS_24const_host_device_scalarIT7_EEPKT2_PKS4_PKT4_PKT5_llS7_PT6_ll16rocsparse_order_21rocsparse_index_base_b, .Lfunc_end56-_ZN9rocsparseL29bsrmmnt_small_blockdim_kernelILj64ELj64ELj2Ell21rocsparse_complex_numIfES2_S2_S2_EEv20rocsparse_direction_T3_S4_llNS_24const_host_device_scalarIT7_EEPKT2_PKS4_PKT4_PKT5_llS7_PT6_ll16rocsparse_order_21rocsparse_index_base_b
                                        ; -- End function
	.section	.AMDGPU.csdata,"",@progbits
; Kernel info:
; codeLenInByte = 1756
; NumSgprs: 40
; NumVgprs: 52
; NumAgprs: 0
; TotalNumVgprs: 52
; ScratchSize: 0
; MemoryBound: 0
; FloatMode: 240
; IeeeMode: 1
; LDSByteSize: 2048 bytes/workgroup (compile time only)
; SGPRBlocks: 4
; VGPRBlocks: 6
; NumSGPRsForWavesPerEU: 40
; NumVGPRsForWavesPerEU: 52
; AccumOffset: 52
; Occupancy: 8
; WaveLimiterHint : 1
; COMPUTE_PGM_RSRC2:SCRATCH_EN: 0
; COMPUTE_PGM_RSRC2:USER_SGPR: 6
; COMPUTE_PGM_RSRC2:TRAP_HANDLER: 0
; COMPUTE_PGM_RSRC2:TGID_X_EN: 1
; COMPUTE_PGM_RSRC2:TGID_Y_EN: 0
; COMPUTE_PGM_RSRC2:TGID_Z_EN: 0
; COMPUTE_PGM_RSRC2:TIDIG_COMP_CNT: 0
; COMPUTE_PGM_RSRC3_GFX90A:ACCUM_OFFSET: 12
; COMPUTE_PGM_RSRC3_GFX90A:TG_SPLIT: 0
	.section	.text._ZN9rocsparseL29bsrmmnt_small_blockdim_kernelILj64ELj8ELj2Eii21rocsparse_complex_numIdES2_S2_S2_EEv20rocsparse_direction_T3_S4_llNS_24const_host_device_scalarIT7_EEPKT2_PKS4_PKT4_PKT5_llS7_PT6_ll16rocsparse_order_21rocsparse_index_base_b,"axG",@progbits,_ZN9rocsparseL29bsrmmnt_small_blockdim_kernelILj64ELj8ELj2Eii21rocsparse_complex_numIdES2_S2_S2_EEv20rocsparse_direction_T3_S4_llNS_24const_host_device_scalarIT7_EEPKT2_PKS4_PKT4_PKT5_llS7_PT6_ll16rocsparse_order_21rocsparse_index_base_b,comdat
	.globl	_ZN9rocsparseL29bsrmmnt_small_blockdim_kernelILj64ELj8ELj2Eii21rocsparse_complex_numIdES2_S2_S2_EEv20rocsparse_direction_T3_S4_llNS_24const_host_device_scalarIT7_EEPKT2_PKS4_PKT4_PKT5_llS7_PT6_ll16rocsparse_order_21rocsparse_index_base_b ; -- Begin function _ZN9rocsparseL29bsrmmnt_small_blockdim_kernelILj64ELj8ELj2Eii21rocsparse_complex_numIdES2_S2_S2_EEv20rocsparse_direction_T3_S4_llNS_24const_host_device_scalarIT7_EEPKT2_PKS4_PKT4_PKT5_llS7_PT6_ll16rocsparse_order_21rocsparse_index_base_b
	.p2align	8
	.type	_ZN9rocsparseL29bsrmmnt_small_blockdim_kernelILj64ELj8ELj2Eii21rocsparse_complex_numIdES2_S2_S2_EEv20rocsparse_direction_T3_S4_llNS_24const_host_device_scalarIT7_EEPKT2_PKS4_PKT4_PKT5_llS7_PT6_ll16rocsparse_order_21rocsparse_index_base_b,@function
_ZN9rocsparseL29bsrmmnt_small_blockdim_kernelILj64ELj8ELj2Eii21rocsparse_complex_numIdES2_S2_S2_EEv20rocsparse_direction_T3_S4_llNS_24const_host_device_scalarIT7_EEPKT2_PKS4_PKT4_PKT5_llS7_PT6_ll16rocsparse_order_21rocsparse_index_base_b: ; @_ZN9rocsparseL29bsrmmnt_small_blockdim_kernelILj64ELj8ELj2Eii21rocsparse_complex_numIdES2_S2_S2_EEv20rocsparse_direction_T3_S4_llNS_24const_host_device_scalarIT7_EEPKT2_PKS4_PKT4_PKT5_llS7_PT6_ll16rocsparse_order_21rocsparse_index_base_b
; %bb.0:
	s_add_u32 flat_scratch_lo, s6, s9
	s_load_dwordx4 s[16:19], s[4:5], 0x88
	s_load_dwordx4 s[20:23], s[4:5], 0x20
	s_addc_u32 flat_scratch_hi, s7, 0
	s_add_u32 s0, s0, s9
	s_load_dwordx4 s[12:15], s[4:5], 0x60
	s_addc_u32 s1, s1, 0
	s_waitcnt lgkmcnt(0)
	s_bitcmp1_b32 s18, 0
	v_mov_b32_e32 v1, 0
	v_mov_b32_e32 v3, s20
	s_cselect_b64 s[6:7], -1, 0
	v_cndmask_b32_e64 v2, v3, v1, s[6:7]
	v_mov_b32_e32 v1, s21
	s_mov_b64 s[10:11], src_private_base
	s_and_b64 vcc, s[6:7], exec
	buffer_store_dword v1, off, s[0:3], 0 offset:4
	buffer_store_dword v3, off, s[0:3], 0
	v_mov_b32_e32 v1, s13
	s_cselect_b32 s9, s11, s21
	buffer_store_dword v1, off, s[0:3], 0 offset:12
	v_mov_b32_e32 v1, s12
	buffer_store_dword v1, off, s[0:3], 0 offset:8
	v_mov_b32_e32 v3, s9
	flat_load_dwordx2 v[8:9], v[2:3]
	s_xor_b64 s[18:19], s[6:7], -1
	v_pk_mov_b32 v[10:11], s[22:23], s[22:23] op_sel:[0,1]
	s_cbranch_vccnz .LBB57_2
; %bb.1:
	v_pk_mov_b32 v[2:3], s[20:21], s[20:21] op_sel:[0,1]
	flat_load_dwordx2 v[10:11], v[2:3] offset:8
.LBB57_2:
	s_and_b64 s[20:21], s[6:7], exec
	s_cselect_b32 s9, s11, s13
	v_mov_b32_e32 v1, 8
	v_mov_b32_e32 v2, s12
	v_cndmask_b32_e64 v2, v2, v1, s[6:7]
	v_mov_b32_e32 v3, s9
	flat_load_dwordx2 v[12:13], v[2:3]
	s_andn2_b64 vcc, exec, s[18:19]
	v_pk_mov_b32 v[14:15], s[14:15], s[14:15] op_sel:[0,1]
	s_cbranch_vccnz .LBB57_4
; %bb.3:
	v_pk_mov_b32 v[2:3], s[12:13], s[12:13] op_sel:[0,1]
	flat_load_dwordx2 v[14:15], v[2:3] offset:8
.LBB57_4:
	s_waitcnt vmcnt(0) lgkmcnt(0)
	v_cmp_eq_f64_e32 vcc, 0, v[8:9]
	v_cmp_eq_f64_e64 s[6:7], 0, v[10:11]
	s_and_b64 s[12:13], vcc, s[6:7]
	s_mov_b64 s[6:7], -1
	s_and_saveexec_b64 s[10:11], s[12:13]
; %bb.5:
	v_cmp_neq_f64_e32 vcc, 1.0, v[12:13]
	v_cmp_neq_f64_e64 s[6:7], 0, v[14:15]
	s_or_b64 s[6:7], vcc, s[6:7]
	s_orn2_b64 s[6:7], s[6:7], exec
; %bb.6:
	s_or_b64 exec, exec, s[10:11]
	s_and_saveexec_b64 s[10:11], s[6:7]
	s_cbranch_execz .LBB57_31
; %bb.7:
	s_load_dword s6, s[4:5], 0xa4
	s_load_dwordx4 s[20:23], s[4:5], 0x0
	s_waitcnt lgkmcnt(0)
	s_and_b32 s6, s6, 0xffff
	s_mul_i32 s8, s8, s6
	v_add_u32_e32 v1, s8, v0
	v_lshrrev_b32_e32 v2, 4, v1
	v_cmp_gt_i32_e32 vcc, s21, v2
	s_and_b64 exec, exec, vcc
	s_cbranch_execz .LBB57_31
; %bb.8:
	s_cmp_lt_i32 s22, 1
	s_cbranch_scc1 .LBB57_31
; %bb.9:
	s_load_dwordx8 s[8:15], s[4:5], 0x30
	v_lshlrev_b32_e32 v2, 2, v2
	v_and_b32_e32 v28, 7, v0
	v_cmp_neq_f64_e32 vcc, 0, v[12:13]
	v_mul_u32_u24_e32 v5, 3, v28
	s_waitcnt lgkmcnt(0)
	global_load_dwordx2 v[2:3], v2, s[8:9]
	s_load_dwordx4 s[24:27], s[4:5], 0x70
	s_load_dwordx2 s[8:9], s[4:5], 0x50
	v_cmp_neq_f64_e64 s[4:5], 0, v[14:15]
	s_or_b64 s[18:19], vcc, s[4:5]
	v_lshrrev_b32_e32 v16, 3, v1
	v_lshrrev_b32_e32 v4, 3, v0
	v_mov_b32_e32 v0, 0xc00
	s_movk_i32 s6, 0x180
	v_mov_b32_e32 v17, 0
	s_cmp_lg_u32 s16, 1
	v_lshlrev_b32_e32 v5, 4, v5
	v_bfe_u32 v7, v1, 3, 1
	v_lshl_or_b32 v29, v4, 5, v0
	v_mul_u32_u24_e32 v30, 0x180, v4
	v_lshlrev_b64 v[0:1], 4, v[16:17]
	s_cselect_b64 s[28:29], -1, 0
	s_cmp_eq_u32 s20, 0
	v_mad_u32_u24 v32, v4, s6, v5
	s_waitcnt lgkmcnt(0)
	v_mad_u64_u32 v[4:5], s[6:7], v16, s26, 0
	s_cselect_b64 s[4:5], -1, 0
	v_mov_b32_e32 v19, s25
	v_mov_b32_e32 v6, v5
	v_add_co_u32_e32 v33, vcc, s24, v0
	v_cndmask_b32_e64 v18, 0, 1, s[4:5]
	s_and_b64 s[4:5], s[4:5], exec
	v_addc_co_u32_e32 v34, vcc, v19, v1, vcc
	v_mad_u64_u32 v[0:1], s[4:5], v16, s27, v[6:7]
	v_mov_b32_e32 v5, v0
	v_lshlrev_b64 v[0:1], 4, v[4:5]
	v_add_co_u32_e32 v35, vcc, s24, v0
	s_mov_b32 s23, 0
	v_lshl_or_b32 v31, v28, 2, v29
	s_cselect_b32 s16, 1, 2
	v_addc_co_u32_e32 v36, vcc, v19, v1, vcc
	v_lshlrev_b32_e32 v39, v18, v7
	s_waitcnt vmcnt(0)
	v_subrev_u32_e32 v37, s17, v2
	v_subrev_u32_e32 v38, s17, v3
	v_cmp_lt_i32_e64 s[4:5], v2, v3
	s_branch .LBB57_11
.LBB57_10:                              ;   in Loop: Header=BB57_11 Depth=1
	s_or_b64 exec, exec, s[6:7]
	s_add_i32 s23, s23, 8
	s_cmp_lt_i32 s23, s22
	s_cbranch_scc0 .LBB57_31
.LBB57_11:                              ; =>This Loop Header: Depth=1
                                        ;     Child Loop BB57_14 Depth 2
                                        ;       Child Loop BB57_18 Depth 3
	v_or_b32_e32 v18, s23, v28
	v_pk_mov_b32 v[20:21], 0, 0
	v_ashrrev_i32_e32 v19, 31, v18
	v_pk_mov_b32 v[22:23], v[20:21], v[20:21] op_sel:[0,1]
	s_and_saveexec_b64 s[20:21], s[4:5]
	s_cbranch_execz .LBB57_20
; %bb.12:                               ;   in Loop: Header=BB57_11 Depth=1
	v_lshlrev_b64 v[0:1], 4, v[18:19]
	v_mov_b32_e32 v2, s15
	v_add_co_u32_e64 v40, s[6:7], s14, v0
	v_pk_mov_b32 v[24:25], 0, 0
	v_cmp_gt_i32_e32 vcc, s22, v18
	v_addc_co_u32_e64 v41, s[6:7], v2, v1, s[6:7]
	s_mov_b64 s[24:25], 0
	v_mov_b32_e32 v42, v37
	v_pk_mov_b32 v[20:21], v[24:25], v[24:25] op_sel:[0,1]
	v_pk_mov_b32 v[22:23], v[24:25], v[24:25] op_sel:[0,1]
	s_branch .LBB57_14
.LBB57_13:                              ;   in Loop: Header=BB57_14 Depth=2
	s_or_b64 exec, exec, s[30:31]
	v_add_u32_e32 v42, 8, v42
	v_cmp_ge_i32_e64 s[6:7], v42, v38
	s_or_b64 s[24:25], s[6:7], s[24:25]
	s_andn2_b64 exec, exec, s[24:25]
	s_cbranch_execz .LBB57_19
.LBB57_14:                              ;   Parent Loop BB57_11 Depth=1
                                        ; =>  This Loop Header: Depth=2
                                        ;       Child Loop BB57_18 Depth 3
	v_add_u32_e32 v26, v42, v28
	v_cmp_lt_i32_e64 s[6:7], v26, v38
	v_mov_b32_e32 v16, 0
	v_pk_mov_b32 v[4:5], v[24:25], v[24:25] op_sel:[0,1]
	v_pk_mov_b32 v[6:7], v[24:25], v[24:25] op_sel:[0,1]
	;; [unrolled: 1-line block ×4, first 2 shown]
	s_and_saveexec_b64 s[30:31], s[6:7]
	s_cbranch_execz .LBB57_16
; %bb.15:                               ;   in Loop: Header=BB57_14 Depth=2
	v_ashrrev_i32_e32 v27, 31, v26
	v_lshlrev_b64 v[0:1], 2, v[26:27]
	v_mov_b32_e32 v2, s11
	v_add_co_u32_e64 v0, s[6:7], s10, v0
	v_addc_co_u32_e64 v1, s[6:7], v2, v1, s[6:7]
	v_lshl_or_b32 v16, v26, 2, v39
	global_load_dword v43, v[0:1], off
	v_lshlrev_b64 v[0:1], 4, v[16:17]
	v_mov_b32_e32 v2, s13
	v_add_co_u32_e64 v26, s[6:7], s12, v0
	v_or_b32_e32 v16, s16, v16
	v_addc_co_u32_e64 v27, s[6:7], v2, v1, s[6:7]
	v_lshlrev_b64 v[0:1], 4, v[16:17]
	v_add_co_u32_e64 v44, s[6:7], s12, v0
	v_addc_co_u32_e64 v45, s[6:7], v2, v1, s[6:7]
	global_load_dwordx4 v[4:7], v[26:27], off
	global_load_dwordx4 v[0:3], v[44:45], off
	s_waitcnt vmcnt(2)
	v_subrev_u32_e32 v16, s17, v43
	v_lshlrev_b32_e32 v16, 1, v16
.LBB57_16:                              ;   in Loop: Header=BB57_14 Depth=2
	s_or_b64 exec, exec, s[30:31]
	ds_write_b32 v31, v16
	s_waitcnt vmcnt(1)
	ds_write_b128 v32, v[4:7]
	s_waitcnt vmcnt(0)
	ds_write_b128 v32, v[0:3] offset:16
	s_waitcnt lgkmcnt(0)
	; wave barrier
	s_waitcnt lgkmcnt(0)
	s_and_saveexec_b64 s[30:31], vcc
	s_cbranch_execz .LBB57_13
; %bb.17:                               ;   in Loop: Header=BB57_14 Depth=2
	s_mov_b32 s33, 0
	v_mov_b32_e32 v0, v30
.LBB57_18:                              ;   Parent Loop BB57_11 Depth=1
                                        ;     Parent Loop BB57_14 Depth=2
                                        ; =>    This Inner Loop Header: Depth=3
	v_add_u32_e32 v1, s33, v29
	ds_read_b64 v[2:3], v1
	s_add_i32 s33, s33, 8
	s_cmp_lg_u32 s33, 32
	s_waitcnt lgkmcnt(0)
	v_ashrrev_i32_e32 v1, 31, v2
	v_mul_lo_u32 v16, v2, s9
	v_mad_u64_u32 v[4:5], s[6:7], v2, s8, 0
	v_add_u32_e32 v27, 1, v3
	v_mul_lo_u32 v1, v1, s8
	v_add_u32_e32 v2, 1, v2
	v_ashrrev_i32_e32 v26, 31, v3
	v_ashrrev_i32_e32 v47, 31, v27
	v_add3_u32 v5, v5, v16, v1
	v_mul_lo_u32 v43, v3, s9
	v_mad_u64_u32 v[6:7], s[6:7], v3, s8, 0
	v_ashrrev_i32_e32 v44, 31, v2
	v_mul_lo_u32 v45, v2, s9
	v_mad_u64_u32 v[2:3], s[6:7], v2, s8, 0
	v_mul_lo_u32 v46, v26, s8
	v_mul_lo_u32 v48, v27, s9
	v_mad_u64_u32 v[26:27], s[6:7], v27, s8, 0
	v_mul_lo_u32 v16, v47, s8
	v_lshlrev_b64 v[4:5], 4, v[4:5]
	v_add3_u32 v7, v7, v43, v46
	v_add3_u32 v27, v27, v48, v16
	v_add_co_u32_e64 v48, s[6:7], v40, v4
	v_mul_lo_u32 v1, v44, s8
	v_lshlrev_b64 v[6:7], 4, v[6:7]
	v_addc_co_u32_e64 v49, s[6:7], v41, v5, s[6:7]
	v_add3_u32 v3, v3, v45, v1
	v_add_co_u32_e64 v6, s[6:7], v40, v6
	v_lshlrev_b64 v[2:3], 4, v[2:3]
	v_addc_co_u32_e64 v7, s[6:7], v41, v7, s[6:7]
	v_add_co_u32_e64 v50, s[6:7], v40, v2
	v_addc_co_u32_e64 v51, s[6:7], v41, v3, s[6:7]
	global_load_dwordx4 v[2:5], v[48:49], off
	global_load_dwordx4 v[44:47], v[6:7], off
	v_lshlrev_b64 v[26:27], 4, v[26:27]
	global_load_dwordx4 v[48:51], v[50:51], off
	v_add_co_u32_e64 v6, s[6:7], v40, v26
	v_addc_co_u32_e64 v7, s[6:7], v41, v27, s[6:7]
	global_load_dwordx4 v[52:55], v[6:7], off
	ds_read_b128 v[56:59], v0
	ds_read_b128 v[60:63], v0 offset:16
	ds_read_b128 v[64:67], v0 offset:48
	;; [unrolled: 1-line block ×3, first 2 shown]
	v_add_u32_e32 v0, 0x60, v0
	s_waitcnt vmcnt(3) lgkmcnt(3)
	v_fmac_f64_e32 v[22:23], v[56:57], v[2:3]
	v_fmac_f64_e32 v[20:21], v[58:59], v[2:3]
	v_fma_f64 v[2:3], -v[58:59], v[4:5], v[22:23]
	v_fmac_f64_e32 v[20:21], v[56:57], v[4:5]
	s_waitcnt vmcnt(1) lgkmcnt(2)
	v_fmac_f64_e32 v[2:3], v[60:61], v[48:49]
	v_fmac_f64_e32 v[20:21], v[62:63], v[48:49]
	v_fma_f64 v[2:3], -v[62:63], v[50:51], v[2:3]
	v_fmac_f64_e32 v[20:21], v[60:61], v[50:51]
	s_waitcnt lgkmcnt(1)
	v_fmac_f64_e32 v[2:3], v[64:65], v[44:45]
	v_fmac_f64_e32 v[20:21], v[66:67], v[44:45]
	v_fma_f64 v[2:3], -v[66:67], v[46:47], v[2:3]
	v_fmac_f64_e32 v[20:21], v[64:65], v[46:47]
	s_waitcnt vmcnt(0) lgkmcnt(0)
	v_fmac_f64_e32 v[2:3], v[68:69], v[52:53]
	v_fmac_f64_e32 v[20:21], v[70:71], v[52:53]
	v_fma_f64 v[22:23], -v[70:71], v[54:55], v[2:3]
	v_fmac_f64_e32 v[20:21], v[68:69], v[54:55]
	s_cbranch_scc1 .LBB57_18
	s_branch .LBB57_13
.LBB57_19:                              ;   in Loop: Header=BB57_11 Depth=1
	s_or_b64 exec, exec, s[24:25]
.LBB57_20:                              ;   in Loop: Header=BB57_11 Depth=1
	s_or_b64 exec, exec, s[20:21]
	v_cmp_gt_i32_e32 vcc, s22, v18
	s_and_saveexec_b64 s[6:7], vcc
	s_cbranch_execz .LBB57_10
; %bb.21:                               ;   in Loop: Header=BB57_11 Depth=1
	s_and_saveexec_b64 s[20:21], s[18:19]
	s_xor_b64 s[20:21], exec, s[20:21]
	s_cbranch_execz .LBB57_26
; %bb.22:                               ;   in Loop: Header=BB57_11 Depth=1
	s_mov_b64 s[24:25], -1
	s_and_b64 vcc, exec, s[28:29]
	s_cbranch_vccz .LBB57_24
; %bb.23:                               ;   in Loop: Header=BB57_11 Depth=1
	v_lshlrev_b64 v[0:1], 4, v[18:19]
	v_add_co_u32_e32 v24, vcc, v35, v0
	v_addc_co_u32_e32 v25, vcc, v36, v1, vcc
	global_load_dwordx4 v[0:3], v[24:25], off
	v_mul_f64 v[4:5], v[20:21], -v[10:11]
	v_mul_f64 v[6:7], v[8:9], v[20:21]
	v_fmac_f64_e32 v[4:5], v[8:9], v[22:23]
	v_fmac_f64_e32 v[6:7], v[10:11], v[22:23]
	s_mov_b64 s[24:25], 0
	s_waitcnt vmcnt(0)
	v_fmac_f64_e32 v[4:5], v[12:13], v[0:1]
	v_fmac_f64_e32 v[6:7], v[14:15], v[0:1]
	v_fma_f64 v[4:5], -v[14:15], v[2:3], v[4:5]
	v_fmac_f64_e32 v[6:7], v[12:13], v[2:3]
	global_store_dwordx4 v[24:25], v[4:7], off
.LBB57_24:                              ;   in Loop: Header=BB57_11 Depth=1
	s_andn2_b64 vcc, exec, s[24:25]
	s_cbranch_vccnz .LBB57_26
; %bb.25:                               ;   in Loop: Header=BB57_11 Depth=1
	v_mul_lo_u32 v2, v19, s26
	v_mul_lo_u32 v3, v18, s27
	v_mad_u64_u32 v[0:1], s[24:25], v18, s26, 0
	v_add3_u32 v1, v1, v3, v2
	v_lshlrev_b64 v[0:1], 4, v[0:1]
	v_add_co_u32_e32 v18, vcc, v33, v0
	v_addc_co_u32_e32 v19, vcc, v34, v1, vcc
	global_load_dwordx4 v[0:3], v[18:19], off
	v_mul_f64 v[4:5], v[20:21], -v[10:11]
	v_mul_f64 v[6:7], v[8:9], v[20:21]
	v_fmac_f64_e32 v[4:5], v[8:9], v[22:23]
	v_fmac_f64_e32 v[6:7], v[10:11], v[22:23]
                                        ; implicit-def: $vgpr20_vgpr21
                                        ; implicit-def: $vgpr22_vgpr23
	s_waitcnt vmcnt(0)
	v_fmac_f64_e32 v[4:5], v[12:13], v[0:1]
	v_fmac_f64_e32 v[6:7], v[14:15], v[0:1]
	v_fma_f64 v[4:5], -v[14:15], v[2:3], v[4:5]
	v_fmac_f64_e32 v[6:7], v[12:13], v[2:3]
	global_store_dwordx4 v[18:19], v[4:7], off
                                        ; implicit-def: $vgpr18
.LBB57_26:                              ;   in Loop: Header=BB57_11 Depth=1
	s_andn2_saveexec_b64 s[20:21], s[20:21]
	s_cbranch_execz .LBB57_10
; %bb.27:                               ;   in Loop: Header=BB57_11 Depth=1
	v_mul_f64 v[0:1], v[20:21], -v[10:11]
	v_mul_f64 v[2:3], v[8:9], v[20:21]
	v_fmac_f64_e32 v[0:1], v[8:9], v[22:23]
	v_fmac_f64_e32 v[2:3], v[10:11], v[22:23]
	s_mov_b64 s[20:21], -1
	s_and_b64 vcc, exec, s[28:29]
	s_cbranch_vccz .LBB57_29
; %bb.28:                               ;   in Loop: Header=BB57_11 Depth=1
	v_lshlrev_b64 v[4:5], 4, v[18:19]
	v_add_co_u32_e32 v4, vcc, v35, v4
	v_addc_co_u32_e32 v5, vcc, v36, v5, vcc
	global_store_dwordx4 v[4:5], v[0:3], off
	s_mov_b64 s[20:21], 0
.LBB57_29:                              ;   in Loop: Header=BB57_11 Depth=1
	s_andn2_b64 vcc, exec, s[20:21]
	s_cbranch_vccnz .LBB57_10
; %bb.30:                               ;   in Loop: Header=BB57_11 Depth=1
	v_mul_lo_u32 v6, v19, s26
	v_mul_lo_u32 v7, v18, s27
	v_mad_u64_u32 v[4:5], s[20:21], v18, s26, 0
	v_add3_u32 v5, v5, v7, v6
	v_lshlrev_b64 v[4:5], 4, v[4:5]
	v_add_co_u32_e32 v4, vcc, v33, v4
	v_addc_co_u32_e32 v5, vcc, v34, v5, vcc
	global_store_dwordx4 v[4:5], v[0:3], off
	s_branch .LBB57_10
.LBB57_31:
	s_endpgm
	.section	.rodata,"a",@progbits
	.p2align	6, 0x0
	.amdhsa_kernel _ZN9rocsparseL29bsrmmnt_small_blockdim_kernelILj64ELj8ELj2Eii21rocsparse_complex_numIdES2_S2_S2_EEv20rocsparse_direction_T3_S4_llNS_24const_host_device_scalarIT7_EEPKT2_PKS4_PKT4_PKT5_llS7_PT6_ll16rocsparse_order_21rocsparse_index_base_b
		.amdhsa_group_segment_fixed_size 3328
		.amdhsa_private_segment_fixed_size 24
		.amdhsa_kernarg_size 408
		.amdhsa_user_sgpr_count 8
		.amdhsa_user_sgpr_private_segment_buffer 1
		.amdhsa_user_sgpr_dispatch_ptr 0
		.amdhsa_user_sgpr_queue_ptr 0
		.amdhsa_user_sgpr_kernarg_segment_ptr 1
		.amdhsa_user_sgpr_dispatch_id 0
		.amdhsa_user_sgpr_flat_scratch_init 1
		.amdhsa_user_sgpr_kernarg_preload_length 0
		.amdhsa_user_sgpr_kernarg_preload_offset 0
		.amdhsa_user_sgpr_private_segment_size 0
		.amdhsa_uses_dynamic_stack 0
		.amdhsa_system_sgpr_private_segment_wavefront_offset 1
		.amdhsa_system_sgpr_workgroup_id_x 1
		.amdhsa_system_sgpr_workgroup_id_y 0
		.amdhsa_system_sgpr_workgroup_id_z 0
		.amdhsa_system_sgpr_workgroup_info 0
		.amdhsa_system_vgpr_workitem_id 0
		.amdhsa_next_free_vgpr 72
		.amdhsa_next_free_sgpr 34
		.amdhsa_accum_offset 72
		.amdhsa_reserve_vcc 1
		.amdhsa_reserve_flat_scratch 1
		.amdhsa_float_round_mode_32 0
		.amdhsa_float_round_mode_16_64 0
		.amdhsa_float_denorm_mode_32 3
		.amdhsa_float_denorm_mode_16_64 3
		.amdhsa_dx10_clamp 1
		.amdhsa_ieee_mode 1
		.amdhsa_fp16_overflow 0
		.amdhsa_tg_split 0
		.amdhsa_exception_fp_ieee_invalid_op 0
		.amdhsa_exception_fp_denorm_src 0
		.amdhsa_exception_fp_ieee_div_zero 0
		.amdhsa_exception_fp_ieee_overflow 0
		.amdhsa_exception_fp_ieee_underflow 0
		.amdhsa_exception_fp_ieee_inexact 0
		.amdhsa_exception_int_div_zero 0
	.end_amdhsa_kernel
	.section	.text._ZN9rocsparseL29bsrmmnt_small_blockdim_kernelILj64ELj8ELj2Eii21rocsparse_complex_numIdES2_S2_S2_EEv20rocsparse_direction_T3_S4_llNS_24const_host_device_scalarIT7_EEPKT2_PKS4_PKT4_PKT5_llS7_PT6_ll16rocsparse_order_21rocsparse_index_base_b,"axG",@progbits,_ZN9rocsparseL29bsrmmnt_small_blockdim_kernelILj64ELj8ELj2Eii21rocsparse_complex_numIdES2_S2_S2_EEv20rocsparse_direction_T3_S4_llNS_24const_host_device_scalarIT7_EEPKT2_PKS4_PKT4_PKT5_llS7_PT6_ll16rocsparse_order_21rocsparse_index_base_b,comdat
.Lfunc_end57:
	.size	_ZN9rocsparseL29bsrmmnt_small_blockdim_kernelILj64ELj8ELj2Eii21rocsparse_complex_numIdES2_S2_S2_EEv20rocsparse_direction_T3_S4_llNS_24const_host_device_scalarIT7_EEPKT2_PKS4_PKT4_PKT5_llS7_PT6_ll16rocsparse_order_21rocsparse_index_base_b, .Lfunc_end57-_ZN9rocsparseL29bsrmmnt_small_blockdim_kernelILj64ELj8ELj2Eii21rocsparse_complex_numIdES2_S2_S2_EEv20rocsparse_direction_T3_S4_llNS_24const_host_device_scalarIT7_EEPKT2_PKS4_PKT4_PKT5_llS7_PT6_ll16rocsparse_order_21rocsparse_index_base_b
                                        ; -- End function
	.section	.AMDGPU.csdata,"",@progbits
; Kernel info:
; codeLenInByte = 1848
; NumSgprs: 40
; NumVgprs: 72
; NumAgprs: 0
; TotalNumVgprs: 72
; ScratchSize: 24
; MemoryBound: 0
; FloatMode: 240
; IeeeMode: 1
; LDSByteSize: 3328 bytes/workgroup (compile time only)
; SGPRBlocks: 4
; VGPRBlocks: 8
; NumSGPRsForWavesPerEU: 40
; NumVGPRsForWavesPerEU: 72
; AccumOffset: 72
; Occupancy: 5
; WaveLimiterHint : 1
; COMPUTE_PGM_RSRC2:SCRATCH_EN: 1
; COMPUTE_PGM_RSRC2:USER_SGPR: 8
; COMPUTE_PGM_RSRC2:TRAP_HANDLER: 0
; COMPUTE_PGM_RSRC2:TGID_X_EN: 1
; COMPUTE_PGM_RSRC2:TGID_Y_EN: 0
; COMPUTE_PGM_RSRC2:TGID_Z_EN: 0
; COMPUTE_PGM_RSRC2:TIDIG_COMP_CNT: 0
; COMPUTE_PGM_RSRC3_GFX90A:ACCUM_OFFSET: 17
; COMPUTE_PGM_RSRC3_GFX90A:TG_SPLIT: 0
	.section	.text._ZN9rocsparseL29bsrmmnt_small_blockdim_kernelILj64ELj16ELj2Eii21rocsparse_complex_numIdES2_S2_S2_EEv20rocsparse_direction_T3_S4_llNS_24const_host_device_scalarIT7_EEPKT2_PKS4_PKT4_PKT5_llS7_PT6_ll16rocsparse_order_21rocsparse_index_base_b,"axG",@progbits,_ZN9rocsparseL29bsrmmnt_small_blockdim_kernelILj64ELj16ELj2Eii21rocsparse_complex_numIdES2_S2_S2_EEv20rocsparse_direction_T3_S4_llNS_24const_host_device_scalarIT7_EEPKT2_PKS4_PKT4_PKT5_llS7_PT6_ll16rocsparse_order_21rocsparse_index_base_b,comdat
	.globl	_ZN9rocsparseL29bsrmmnt_small_blockdim_kernelILj64ELj16ELj2Eii21rocsparse_complex_numIdES2_S2_S2_EEv20rocsparse_direction_T3_S4_llNS_24const_host_device_scalarIT7_EEPKT2_PKS4_PKT4_PKT5_llS7_PT6_ll16rocsparse_order_21rocsparse_index_base_b ; -- Begin function _ZN9rocsparseL29bsrmmnt_small_blockdim_kernelILj64ELj16ELj2Eii21rocsparse_complex_numIdES2_S2_S2_EEv20rocsparse_direction_T3_S4_llNS_24const_host_device_scalarIT7_EEPKT2_PKS4_PKT4_PKT5_llS7_PT6_ll16rocsparse_order_21rocsparse_index_base_b
	.p2align	8
	.type	_ZN9rocsparseL29bsrmmnt_small_blockdim_kernelILj64ELj16ELj2Eii21rocsparse_complex_numIdES2_S2_S2_EEv20rocsparse_direction_T3_S4_llNS_24const_host_device_scalarIT7_EEPKT2_PKS4_PKT4_PKT5_llS7_PT6_ll16rocsparse_order_21rocsparse_index_base_b,@function
_ZN9rocsparseL29bsrmmnt_small_blockdim_kernelILj64ELj16ELj2Eii21rocsparse_complex_numIdES2_S2_S2_EEv20rocsparse_direction_T3_S4_llNS_24const_host_device_scalarIT7_EEPKT2_PKS4_PKT4_PKT5_llS7_PT6_ll16rocsparse_order_21rocsparse_index_base_b: ; @_ZN9rocsparseL29bsrmmnt_small_blockdim_kernelILj64ELj16ELj2Eii21rocsparse_complex_numIdES2_S2_S2_EEv20rocsparse_direction_T3_S4_llNS_24const_host_device_scalarIT7_EEPKT2_PKS4_PKT4_PKT5_llS7_PT6_ll16rocsparse_order_21rocsparse_index_base_b
; %bb.0:
	s_add_u32 flat_scratch_lo, s6, s9
	s_load_dwordx4 s[16:19], s[4:5], 0x88
	s_load_dwordx4 s[20:23], s[4:5], 0x20
	s_addc_u32 flat_scratch_hi, s7, 0
	s_add_u32 s0, s0, s9
	s_load_dwordx4 s[12:15], s[4:5], 0x60
	s_addc_u32 s1, s1, 0
	s_waitcnt lgkmcnt(0)
	s_bitcmp1_b32 s18, 0
	v_mov_b32_e32 v1, 0
	v_mov_b32_e32 v3, s20
	s_cselect_b64 s[6:7], -1, 0
	v_cndmask_b32_e64 v2, v3, v1, s[6:7]
	v_mov_b32_e32 v1, s21
	s_mov_b64 s[10:11], src_private_base
	s_and_b64 vcc, s[6:7], exec
	buffer_store_dword v1, off, s[0:3], 0 offset:4
	buffer_store_dword v3, off, s[0:3], 0
	v_mov_b32_e32 v1, s13
	s_cselect_b32 s9, s11, s21
	buffer_store_dword v1, off, s[0:3], 0 offset:12
	v_mov_b32_e32 v1, s12
	buffer_store_dword v1, off, s[0:3], 0 offset:8
	v_mov_b32_e32 v3, s9
	flat_load_dwordx2 v[8:9], v[2:3]
	s_xor_b64 s[18:19], s[6:7], -1
	v_pk_mov_b32 v[10:11], s[22:23], s[22:23] op_sel:[0,1]
	s_cbranch_vccnz .LBB58_2
; %bb.1:
	v_pk_mov_b32 v[2:3], s[20:21], s[20:21] op_sel:[0,1]
	flat_load_dwordx2 v[10:11], v[2:3] offset:8
.LBB58_2:
	s_and_b64 s[20:21], s[6:7], exec
	s_cselect_b32 s9, s11, s13
	v_mov_b32_e32 v1, 8
	v_mov_b32_e32 v2, s12
	v_cndmask_b32_e64 v2, v2, v1, s[6:7]
	v_mov_b32_e32 v3, s9
	flat_load_dwordx2 v[12:13], v[2:3]
	s_andn2_b64 vcc, exec, s[18:19]
	v_pk_mov_b32 v[14:15], s[14:15], s[14:15] op_sel:[0,1]
	s_cbranch_vccnz .LBB58_4
; %bb.3:
	v_pk_mov_b32 v[2:3], s[12:13], s[12:13] op_sel:[0,1]
	flat_load_dwordx2 v[14:15], v[2:3] offset:8
.LBB58_4:
	s_waitcnt vmcnt(0) lgkmcnt(0)
	v_cmp_eq_f64_e32 vcc, 0, v[8:9]
	v_cmp_eq_f64_e64 s[6:7], 0, v[10:11]
	s_and_b64 s[12:13], vcc, s[6:7]
	s_mov_b64 s[6:7], -1
	s_and_saveexec_b64 s[10:11], s[12:13]
; %bb.5:
	v_cmp_neq_f64_e32 vcc, 1.0, v[12:13]
	v_cmp_neq_f64_e64 s[6:7], 0, v[14:15]
	s_or_b64 s[6:7], vcc, s[6:7]
	s_orn2_b64 s[6:7], s[6:7], exec
; %bb.6:
	s_or_b64 exec, exec, s[10:11]
	s_and_saveexec_b64 s[10:11], s[6:7]
	s_cbranch_execz .LBB58_31
; %bb.7:
	s_load_dword s6, s[4:5], 0xa4
	s_load_dwordx4 s[20:23], s[4:5], 0x0
	s_waitcnt lgkmcnt(0)
	s_and_b32 s6, s6, 0xffff
	s_mul_i32 s8, s8, s6
	v_add_u32_e32 v1, s8, v0
	v_lshrrev_b32_e32 v2, 5, v1
	v_cmp_gt_i32_e32 vcc, s21, v2
	s_and_b64 exec, exec, vcc
	s_cbranch_execz .LBB58_31
; %bb.8:
	s_cmp_lt_i32 s22, 1
	s_cbranch_scc1 .LBB58_31
; %bb.9:
	s_load_dwordx8 s[8:15], s[4:5], 0x30
	v_lshlrev_b32_e32 v2, 2, v2
	v_cmp_neq_f64_e32 vcc, 0, v[12:13]
	v_and_b32_e32 v28, 15, v0
	v_lshrrev_b32_e32 v5, 4, v1
	s_waitcnt lgkmcnt(0)
	global_load_dwordx2 v[2:3], v2, s[8:9]
	s_load_dwordx4 s[24:27], s[4:5], 0x70
	s_load_dwordx2 s[8:9], s[4:5], 0x50
	v_cmp_neq_f64_e64 s[4:5], 0, v[14:15]
	s_or_b64 s[18:19], vcc, s[4:5]
	s_cmp_lg_u32 s16, 1
	v_bfe_u32 v4, v1, 4, 1
	v_and_b32_e32 v7, -16, v1
	v_mul_u32_u24_e32 v1, 3, v28
	s_cselect_b64 s[28:29], -1, 0
	s_cmp_eq_u32 s20, 0
	v_lshrrev_b32_e32 v0, 4, v0
	v_mov_b32_e32 v6, 0xc00
	s_movk_i32 s6, 0x300
	v_lshlrev_b32_e32 v1, 4, v1
	s_cselect_b64 s[4:5], -1, 0
	v_lshl_or_b32 v29, v0, 6, v6
	v_mul_u32_u24_e32 v30, 0x300, v0
	v_mad_u32_u24 v32, v0, s6, v1
	v_cndmask_b32_e64 v6, 0, 1, s[4:5]
	s_waitcnt lgkmcnt(0)
	v_mad_u64_u32 v[0:1], s[6:7], v5, s26, 0
	v_lshlrev_b32_e32 v33, v6, v4
	v_mov_b32_e32 v4, v1
	s_and_b64 s[4:5], s[4:5], exec
	v_mad_u64_u32 v[4:5], s[4:5], v5, s27, v[4:5]
	v_mov_b32_e32 v16, s25
	v_add_co_u32_e32 v34, vcc, s24, v7
	v_mov_b32_e32 v1, v4
	v_addc_co_u32_e32 v35, vcc, 0, v16, vcc
	v_lshlrev_b64 v[0:1], 4, v[0:1]
	v_add_co_u32_e32 v36, vcc, s24, v0
	s_mov_b32 s23, 0
	v_lshl_or_b32 v31, v28, 2, v29
	s_cselect_b32 s16, 1, 2
	v_addc_co_u32_e32 v37, vcc, v16, v1, vcc
	v_mov_b32_e32 v17, 0
	s_waitcnt vmcnt(0)
	v_subrev_u32_e32 v38, s17, v2
	v_subrev_u32_e32 v39, s17, v3
	v_cmp_lt_i32_e64 s[4:5], v2, v3
	s_branch .LBB58_11
.LBB58_10:                              ;   in Loop: Header=BB58_11 Depth=1
	s_or_b64 exec, exec, s[6:7]
	s_add_i32 s23, s23, 16
	s_cmp_lt_i32 s23, s22
	s_cbranch_scc0 .LBB58_31
.LBB58_11:                              ; =>This Loop Header: Depth=1
                                        ;     Child Loop BB58_14 Depth 2
                                        ;       Child Loop BB58_18 Depth 3
	v_or_b32_e32 v18, s23, v28
	v_pk_mov_b32 v[20:21], 0, 0
	v_ashrrev_i32_e32 v19, 31, v18
	v_pk_mov_b32 v[22:23], v[20:21], v[20:21] op_sel:[0,1]
	s_and_saveexec_b64 s[20:21], s[4:5]
	s_cbranch_execz .LBB58_20
; %bb.12:                               ;   in Loop: Header=BB58_11 Depth=1
	v_lshlrev_b64 v[0:1], 4, v[18:19]
	v_mov_b32_e32 v2, s15
	v_add_co_u32_e64 v40, s[6:7], s14, v0
	v_pk_mov_b32 v[24:25], 0, 0
	v_cmp_gt_i32_e32 vcc, s22, v18
	v_addc_co_u32_e64 v41, s[6:7], v2, v1, s[6:7]
	s_mov_b64 s[24:25], 0
	v_mov_b32_e32 v42, v38
	v_pk_mov_b32 v[20:21], v[24:25], v[24:25] op_sel:[0,1]
	v_pk_mov_b32 v[22:23], v[24:25], v[24:25] op_sel:[0,1]
	s_branch .LBB58_14
.LBB58_13:                              ;   in Loop: Header=BB58_14 Depth=2
	s_or_b64 exec, exec, s[30:31]
	v_add_u32_e32 v42, 16, v42
	v_cmp_ge_i32_e64 s[6:7], v42, v39
	s_or_b64 s[24:25], s[6:7], s[24:25]
	s_andn2_b64 exec, exec, s[24:25]
	s_cbranch_execz .LBB58_19
.LBB58_14:                              ;   Parent Loop BB58_11 Depth=1
                                        ; =>  This Loop Header: Depth=2
                                        ;       Child Loop BB58_18 Depth 3
	v_add_u32_e32 v26, v42, v28
	v_cmp_lt_i32_e64 s[6:7], v26, v39
	v_mov_b32_e32 v16, 0
	v_pk_mov_b32 v[4:5], v[24:25], v[24:25] op_sel:[0,1]
	v_pk_mov_b32 v[6:7], v[24:25], v[24:25] op_sel:[0,1]
	;; [unrolled: 1-line block ×4, first 2 shown]
	s_and_saveexec_b64 s[30:31], s[6:7]
	s_cbranch_execz .LBB58_16
; %bb.15:                               ;   in Loop: Header=BB58_14 Depth=2
	v_ashrrev_i32_e32 v27, 31, v26
	v_lshlrev_b64 v[0:1], 2, v[26:27]
	v_mov_b32_e32 v2, s11
	v_add_co_u32_e64 v0, s[6:7], s10, v0
	v_addc_co_u32_e64 v1, s[6:7], v2, v1, s[6:7]
	v_lshl_or_b32 v16, v26, 2, v33
	global_load_dword v43, v[0:1], off
	v_lshlrev_b64 v[0:1], 4, v[16:17]
	v_mov_b32_e32 v2, s13
	v_add_co_u32_e64 v26, s[6:7], s12, v0
	v_or_b32_e32 v16, s16, v16
	v_addc_co_u32_e64 v27, s[6:7], v2, v1, s[6:7]
	v_lshlrev_b64 v[0:1], 4, v[16:17]
	v_add_co_u32_e64 v44, s[6:7], s12, v0
	v_addc_co_u32_e64 v45, s[6:7], v2, v1, s[6:7]
	global_load_dwordx4 v[4:7], v[26:27], off
	global_load_dwordx4 v[0:3], v[44:45], off
	s_waitcnt vmcnt(2)
	v_subrev_u32_e32 v16, s17, v43
	v_lshlrev_b32_e32 v16, 1, v16
.LBB58_16:                              ;   in Loop: Header=BB58_14 Depth=2
	s_or_b64 exec, exec, s[30:31]
	ds_write_b32 v31, v16
	s_waitcnt vmcnt(1)
	ds_write_b128 v32, v[4:7]
	s_waitcnt vmcnt(0)
	ds_write_b128 v32, v[0:3] offset:16
	s_waitcnt lgkmcnt(0)
	; wave barrier
	s_waitcnt lgkmcnt(0)
	s_and_saveexec_b64 s[30:31], vcc
	s_cbranch_execz .LBB58_13
; %bb.17:                               ;   in Loop: Header=BB58_14 Depth=2
	s_mov_b32 s33, 0
	v_mov_b32_e32 v0, v30
.LBB58_18:                              ;   Parent Loop BB58_11 Depth=1
                                        ;     Parent Loop BB58_14 Depth=2
                                        ; =>    This Inner Loop Header: Depth=3
	v_add_u32_e32 v1, s33, v29
	ds_read_b64 v[2:3], v1
	s_add_i32 s33, s33, 8
	s_cmp_lg_u32 s33, 64
	s_waitcnt lgkmcnt(0)
	v_ashrrev_i32_e32 v1, 31, v2
	v_mul_lo_u32 v16, v2, s9
	v_mad_u64_u32 v[4:5], s[6:7], v2, s8, 0
	v_add_u32_e32 v27, 1, v3
	v_mul_lo_u32 v1, v1, s8
	v_add_u32_e32 v2, 1, v2
	v_ashrrev_i32_e32 v26, 31, v3
	v_ashrrev_i32_e32 v47, 31, v27
	v_add3_u32 v5, v5, v16, v1
	v_mul_lo_u32 v43, v3, s9
	v_mad_u64_u32 v[6:7], s[6:7], v3, s8, 0
	v_ashrrev_i32_e32 v44, 31, v2
	v_mul_lo_u32 v45, v2, s9
	v_mad_u64_u32 v[2:3], s[6:7], v2, s8, 0
	v_mul_lo_u32 v46, v26, s8
	v_mul_lo_u32 v48, v27, s9
	v_mad_u64_u32 v[26:27], s[6:7], v27, s8, 0
	v_mul_lo_u32 v16, v47, s8
	v_lshlrev_b64 v[4:5], 4, v[4:5]
	v_add3_u32 v7, v7, v43, v46
	v_add3_u32 v27, v27, v48, v16
	v_add_co_u32_e64 v48, s[6:7], v40, v4
	v_mul_lo_u32 v1, v44, s8
	v_lshlrev_b64 v[6:7], 4, v[6:7]
	v_addc_co_u32_e64 v49, s[6:7], v41, v5, s[6:7]
	v_add3_u32 v3, v3, v45, v1
	v_add_co_u32_e64 v6, s[6:7], v40, v6
	v_lshlrev_b64 v[2:3], 4, v[2:3]
	v_addc_co_u32_e64 v7, s[6:7], v41, v7, s[6:7]
	v_add_co_u32_e64 v50, s[6:7], v40, v2
	v_addc_co_u32_e64 v51, s[6:7], v41, v3, s[6:7]
	global_load_dwordx4 v[2:5], v[48:49], off
	global_load_dwordx4 v[44:47], v[6:7], off
	v_lshlrev_b64 v[26:27], 4, v[26:27]
	global_load_dwordx4 v[48:51], v[50:51], off
	v_add_co_u32_e64 v6, s[6:7], v40, v26
	v_addc_co_u32_e64 v7, s[6:7], v41, v27, s[6:7]
	global_load_dwordx4 v[52:55], v[6:7], off
	ds_read_b128 v[56:59], v0
	ds_read_b128 v[60:63], v0 offset:16
	ds_read_b128 v[64:67], v0 offset:48
	ds_read_b128 v[68:71], v0 offset:64
	v_add_u32_e32 v0, 0x60, v0
	s_waitcnt vmcnt(3) lgkmcnt(3)
	v_fmac_f64_e32 v[22:23], v[56:57], v[2:3]
	v_fmac_f64_e32 v[20:21], v[58:59], v[2:3]
	v_fma_f64 v[2:3], -v[58:59], v[4:5], v[22:23]
	v_fmac_f64_e32 v[20:21], v[56:57], v[4:5]
	s_waitcnt vmcnt(1) lgkmcnt(2)
	v_fmac_f64_e32 v[2:3], v[60:61], v[48:49]
	v_fmac_f64_e32 v[20:21], v[62:63], v[48:49]
	v_fma_f64 v[2:3], -v[62:63], v[50:51], v[2:3]
	v_fmac_f64_e32 v[20:21], v[60:61], v[50:51]
	s_waitcnt lgkmcnt(1)
	v_fmac_f64_e32 v[2:3], v[64:65], v[44:45]
	v_fmac_f64_e32 v[20:21], v[66:67], v[44:45]
	v_fma_f64 v[2:3], -v[66:67], v[46:47], v[2:3]
	v_fmac_f64_e32 v[20:21], v[64:65], v[46:47]
	s_waitcnt vmcnt(0) lgkmcnt(0)
	v_fmac_f64_e32 v[2:3], v[68:69], v[52:53]
	v_fmac_f64_e32 v[20:21], v[70:71], v[52:53]
	v_fma_f64 v[22:23], -v[70:71], v[54:55], v[2:3]
	v_fmac_f64_e32 v[20:21], v[68:69], v[54:55]
	s_cbranch_scc1 .LBB58_18
	s_branch .LBB58_13
.LBB58_19:                              ;   in Loop: Header=BB58_11 Depth=1
	s_or_b64 exec, exec, s[24:25]
.LBB58_20:                              ;   in Loop: Header=BB58_11 Depth=1
	s_or_b64 exec, exec, s[20:21]
	v_cmp_gt_i32_e32 vcc, s22, v18
	s_and_saveexec_b64 s[6:7], vcc
	s_cbranch_execz .LBB58_10
; %bb.21:                               ;   in Loop: Header=BB58_11 Depth=1
	s_and_saveexec_b64 s[20:21], s[18:19]
	s_xor_b64 s[20:21], exec, s[20:21]
	s_cbranch_execz .LBB58_26
; %bb.22:                               ;   in Loop: Header=BB58_11 Depth=1
	s_mov_b64 s[24:25], -1
	s_and_b64 vcc, exec, s[28:29]
	s_cbranch_vccz .LBB58_24
; %bb.23:                               ;   in Loop: Header=BB58_11 Depth=1
	v_lshlrev_b64 v[0:1], 4, v[18:19]
	v_add_co_u32_e32 v24, vcc, v36, v0
	v_addc_co_u32_e32 v25, vcc, v37, v1, vcc
	global_load_dwordx4 v[0:3], v[24:25], off
	v_mul_f64 v[4:5], v[20:21], -v[10:11]
	v_mul_f64 v[6:7], v[8:9], v[20:21]
	v_fmac_f64_e32 v[4:5], v[8:9], v[22:23]
	v_fmac_f64_e32 v[6:7], v[10:11], v[22:23]
	s_mov_b64 s[24:25], 0
	s_waitcnt vmcnt(0)
	v_fmac_f64_e32 v[4:5], v[12:13], v[0:1]
	v_fmac_f64_e32 v[6:7], v[14:15], v[0:1]
	v_fma_f64 v[4:5], -v[14:15], v[2:3], v[4:5]
	v_fmac_f64_e32 v[6:7], v[12:13], v[2:3]
	global_store_dwordx4 v[24:25], v[4:7], off
.LBB58_24:                              ;   in Loop: Header=BB58_11 Depth=1
	s_andn2_b64 vcc, exec, s[24:25]
	s_cbranch_vccnz .LBB58_26
; %bb.25:                               ;   in Loop: Header=BB58_11 Depth=1
	v_mul_lo_u32 v2, v19, s26
	v_mul_lo_u32 v3, v18, s27
	v_mad_u64_u32 v[0:1], s[24:25], v18, s26, 0
	v_add3_u32 v1, v1, v3, v2
	v_lshlrev_b64 v[0:1], 4, v[0:1]
	v_add_co_u32_e32 v18, vcc, v34, v0
	v_addc_co_u32_e32 v19, vcc, v35, v1, vcc
	global_load_dwordx4 v[0:3], v[18:19], off
	v_mul_f64 v[4:5], v[20:21], -v[10:11]
	v_mul_f64 v[6:7], v[8:9], v[20:21]
	v_fmac_f64_e32 v[4:5], v[8:9], v[22:23]
	v_fmac_f64_e32 v[6:7], v[10:11], v[22:23]
                                        ; implicit-def: $vgpr20_vgpr21
                                        ; implicit-def: $vgpr22_vgpr23
	s_waitcnt vmcnt(0)
	v_fmac_f64_e32 v[4:5], v[12:13], v[0:1]
	v_fmac_f64_e32 v[6:7], v[14:15], v[0:1]
	v_fma_f64 v[4:5], -v[14:15], v[2:3], v[4:5]
	v_fmac_f64_e32 v[6:7], v[12:13], v[2:3]
	global_store_dwordx4 v[18:19], v[4:7], off
                                        ; implicit-def: $vgpr18
.LBB58_26:                              ;   in Loop: Header=BB58_11 Depth=1
	s_andn2_saveexec_b64 s[20:21], s[20:21]
	s_cbranch_execz .LBB58_10
; %bb.27:                               ;   in Loop: Header=BB58_11 Depth=1
	v_mul_f64 v[0:1], v[20:21], -v[10:11]
	v_mul_f64 v[2:3], v[8:9], v[20:21]
	v_fmac_f64_e32 v[0:1], v[8:9], v[22:23]
	v_fmac_f64_e32 v[2:3], v[10:11], v[22:23]
	s_mov_b64 s[20:21], -1
	s_and_b64 vcc, exec, s[28:29]
	s_cbranch_vccz .LBB58_29
; %bb.28:                               ;   in Loop: Header=BB58_11 Depth=1
	v_lshlrev_b64 v[4:5], 4, v[18:19]
	v_add_co_u32_e32 v4, vcc, v36, v4
	v_addc_co_u32_e32 v5, vcc, v37, v5, vcc
	global_store_dwordx4 v[4:5], v[0:3], off
	s_mov_b64 s[20:21], 0
.LBB58_29:                              ;   in Loop: Header=BB58_11 Depth=1
	s_andn2_b64 vcc, exec, s[20:21]
	s_cbranch_vccnz .LBB58_10
; %bb.30:                               ;   in Loop: Header=BB58_11 Depth=1
	v_mul_lo_u32 v6, v19, s26
	v_mul_lo_u32 v7, v18, s27
	v_mad_u64_u32 v[4:5], s[20:21], v18, s26, 0
	v_add3_u32 v5, v5, v7, v6
	v_lshlrev_b64 v[4:5], 4, v[4:5]
	v_add_co_u32_e32 v4, vcc, v34, v4
	v_addc_co_u32_e32 v5, vcc, v35, v5, vcc
	global_store_dwordx4 v[4:5], v[0:3], off
	s_branch .LBB58_10
.LBB58_31:
	s_endpgm
	.section	.rodata,"a",@progbits
	.p2align	6, 0x0
	.amdhsa_kernel _ZN9rocsparseL29bsrmmnt_small_blockdim_kernelILj64ELj16ELj2Eii21rocsparse_complex_numIdES2_S2_S2_EEv20rocsparse_direction_T3_S4_llNS_24const_host_device_scalarIT7_EEPKT2_PKS4_PKT4_PKT5_llS7_PT6_ll16rocsparse_order_21rocsparse_index_base_b
		.amdhsa_group_segment_fixed_size 3328
		.amdhsa_private_segment_fixed_size 24
		.amdhsa_kernarg_size 408
		.amdhsa_user_sgpr_count 8
		.amdhsa_user_sgpr_private_segment_buffer 1
		.amdhsa_user_sgpr_dispatch_ptr 0
		.amdhsa_user_sgpr_queue_ptr 0
		.amdhsa_user_sgpr_kernarg_segment_ptr 1
		.amdhsa_user_sgpr_dispatch_id 0
		.amdhsa_user_sgpr_flat_scratch_init 1
		.amdhsa_user_sgpr_kernarg_preload_length 0
		.amdhsa_user_sgpr_kernarg_preload_offset 0
		.amdhsa_user_sgpr_private_segment_size 0
		.amdhsa_uses_dynamic_stack 0
		.amdhsa_system_sgpr_private_segment_wavefront_offset 1
		.amdhsa_system_sgpr_workgroup_id_x 1
		.amdhsa_system_sgpr_workgroup_id_y 0
		.amdhsa_system_sgpr_workgroup_id_z 0
		.amdhsa_system_sgpr_workgroup_info 0
		.amdhsa_system_vgpr_workitem_id 0
		.amdhsa_next_free_vgpr 72
		.amdhsa_next_free_sgpr 34
		.amdhsa_accum_offset 72
		.amdhsa_reserve_vcc 1
		.amdhsa_reserve_flat_scratch 1
		.amdhsa_float_round_mode_32 0
		.amdhsa_float_round_mode_16_64 0
		.amdhsa_float_denorm_mode_32 3
		.amdhsa_float_denorm_mode_16_64 3
		.amdhsa_dx10_clamp 1
		.amdhsa_ieee_mode 1
		.amdhsa_fp16_overflow 0
		.amdhsa_tg_split 0
		.amdhsa_exception_fp_ieee_invalid_op 0
		.amdhsa_exception_fp_denorm_src 0
		.amdhsa_exception_fp_ieee_div_zero 0
		.amdhsa_exception_fp_ieee_overflow 0
		.amdhsa_exception_fp_ieee_underflow 0
		.amdhsa_exception_fp_ieee_inexact 0
		.amdhsa_exception_int_div_zero 0
	.end_amdhsa_kernel
	.section	.text._ZN9rocsparseL29bsrmmnt_small_blockdim_kernelILj64ELj16ELj2Eii21rocsparse_complex_numIdES2_S2_S2_EEv20rocsparse_direction_T3_S4_llNS_24const_host_device_scalarIT7_EEPKT2_PKS4_PKT4_PKT5_llS7_PT6_ll16rocsparse_order_21rocsparse_index_base_b,"axG",@progbits,_ZN9rocsparseL29bsrmmnt_small_blockdim_kernelILj64ELj16ELj2Eii21rocsparse_complex_numIdES2_S2_S2_EEv20rocsparse_direction_T3_S4_llNS_24const_host_device_scalarIT7_EEPKT2_PKS4_PKT4_PKT5_llS7_PT6_ll16rocsparse_order_21rocsparse_index_base_b,comdat
.Lfunc_end58:
	.size	_ZN9rocsparseL29bsrmmnt_small_blockdim_kernelILj64ELj16ELj2Eii21rocsparse_complex_numIdES2_S2_S2_EEv20rocsparse_direction_T3_S4_llNS_24const_host_device_scalarIT7_EEPKT2_PKS4_PKT4_PKT5_llS7_PT6_ll16rocsparse_order_21rocsparse_index_base_b, .Lfunc_end58-_ZN9rocsparseL29bsrmmnt_small_blockdim_kernelILj64ELj16ELj2Eii21rocsparse_complex_numIdES2_S2_S2_EEv20rocsparse_direction_T3_S4_llNS_24const_host_device_scalarIT7_EEPKT2_PKS4_PKT4_PKT5_llS7_PT6_ll16rocsparse_order_21rocsparse_index_base_b
                                        ; -- End function
	.section	.AMDGPU.csdata,"",@progbits
; Kernel info:
; codeLenInByte = 1844
; NumSgprs: 40
; NumVgprs: 72
; NumAgprs: 0
; TotalNumVgprs: 72
; ScratchSize: 24
; MemoryBound: 0
; FloatMode: 240
; IeeeMode: 1
; LDSByteSize: 3328 bytes/workgroup (compile time only)
; SGPRBlocks: 4
; VGPRBlocks: 8
; NumSGPRsForWavesPerEU: 40
; NumVGPRsForWavesPerEU: 72
; AccumOffset: 72
; Occupancy: 5
; WaveLimiterHint : 1
; COMPUTE_PGM_RSRC2:SCRATCH_EN: 1
; COMPUTE_PGM_RSRC2:USER_SGPR: 8
; COMPUTE_PGM_RSRC2:TRAP_HANDLER: 0
; COMPUTE_PGM_RSRC2:TGID_X_EN: 1
; COMPUTE_PGM_RSRC2:TGID_Y_EN: 0
; COMPUTE_PGM_RSRC2:TGID_Z_EN: 0
; COMPUTE_PGM_RSRC2:TIDIG_COMP_CNT: 0
; COMPUTE_PGM_RSRC3_GFX90A:ACCUM_OFFSET: 17
; COMPUTE_PGM_RSRC3_GFX90A:TG_SPLIT: 0
	.section	.text._ZN9rocsparseL29bsrmmnt_small_blockdim_kernelILj64ELj32ELj2Eii21rocsparse_complex_numIdES2_S2_S2_EEv20rocsparse_direction_T3_S4_llNS_24const_host_device_scalarIT7_EEPKT2_PKS4_PKT4_PKT5_llS7_PT6_ll16rocsparse_order_21rocsparse_index_base_b,"axG",@progbits,_ZN9rocsparseL29bsrmmnt_small_blockdim_kernelILj64ELj32ELj2Eii21rocsparse_complex_numIdES2_S2_S2_EEv20rocsparse_direction_T3_S4_llNS_24const_host_device_scalarIT7_EEPKT2_PKS4_PKT4_PKT5_llS7_PT6_ll16rocsparse_order_21rocsparse_index_base_b,comdat
	.globl	_ZN9rocsparseL29bsrmmnt_small_blockdim_kernelILj64ELj32ELj2Eii21rocsparse_complex_numIdES2_S2_S2_EEv20rocsparse_direction_T3_S4_llNS_24const_host_device_scalarIT7_EEPKT2_PKS4_PKT4_PKT5_llS7_PT6_ll16rocsparse_order_21rocsparse_index_base_b ; -- Begin function _ZN9rocsparseL29bsrmmnt_small_blockdim_kernelILj64ELj32ELj2Eii21rocsparse_complex_numIdES2_S2_S2_EEv20rocsparse_direction_T3_S4_llNS_24const_host_device_scalarIT7_EEPKT2_PKS4_PKT4_PKT5_llS7_PT6_ll16rocsparse_order_21rocsparse_index_base_b
	.p2align	8
	.type	_ZN9rocsparseL29bsrmmnt_small_blockdim_kernelILj64ELj32ELj2Eii21rocsparse_complex_numIdES2_S2_S2_EEv20rocsparse_direction_T3_S4_llNS_24const_host_device_scalarIT7_EEPKT2_PKS4_PKT4_PKT5_llS7_PT6_ll16rocsparse_order_21rocsparse_index_base_b,@function
_ZN9rocsparseL29bsrmmnt_small_blockdim_kernelILj64ELj32ELj2Eii21rocsparse_complex_numIdES2_S2_S2_EEv20rocsparse_direction_T3_S4_llNS_24const_host_device_scalarIT7_EEPKT2_PKS4_PKT4_PKT5_llS7_PT6_ll16rocsparse_order_21rocsparse_index_base_b: ; @_ZN9rocsparseL29bsrmmnt_small_blockdim_kernelILj64ELj32ELj2Eii21rocsparse_complex_numIdES2_S2_S2_EEv20rocsparse_direction_T3_S4_llNS_24const_host_device_scalarIT7_EEPKT2_PKS4_PKT4_PKT5_llS7_PT6_ll16rocsparse_order_21rocsparse_index_base_b
; %bb.0:
	s_add_u32 flat_scratch_lo, s6, s9
	s_load_dwordx4 s[16:19], s[4:5], 0x88
	s_load_dwordx4 s[20:23], s[4:5], 0x20
	s_addc_u32 flat_scratch_hi, s7, 0
	s_add_u32 s0, s0, s9
	s_load_dwordx4 s[12:15], s[4:5], 0x60
	s_addc_u32 s1, s1, 0
	s_waitcnt lgkmcnt(0)
	s_bitcmp1_b32 s18, 0
	v_mov_b32_e32 v1, 0
	v_mov_b32_e32 v3, s20
	s_cselect_b64 s[6:7], -1, 0
	v_cndmask_b32_e64 v2, v3, v1, s[6:7]
	v_mov_b32_e32 v1, s21
	s_mov_b64 s[10:11], src_private_base
	s_and_b64 vcc, s[6:7], exec
	buffer_store_dword v1, off, s[0:3], 0 offset:4
	buffer_store_dword v3, off, s[0:3], 0
	v_mov_b32_e32 v1, s13
	s_cselect_b32 s9, s11, s21
	buffer_store_dword v1, off, s[0:3], 0 offset:12
	v_mov_b32_e32 v1, s12
	buffer_store_dword v1, off, s[0:3], 0 offset:8
	v_mov_b32_e32 v3, s9
	flat_load_dwordx2 v[8:9], v[2:3]
	s_xor_b64 s[18:19], s[6:7], -1
	v_pk_mov_b32 v[10:11], s[22:23], s[22:23] op_sel:[0,1]
	s_cbranch_vccnz .LBB59_2
; %bb.1:
	v_pk_mov_b32 v[2:3], s[20:21], s[20:21] op_sel:[0,1]
	flat_load_dwordx2 v[10:11], v[2:3] offset:8
.LBB59_2:
	s_and_b64 s[20:21], s[6:7], exec
	s_cselect_b32 s9, s11, s13
	v_mov_b32_e32 v1, 8
	v_mov_b32_e32 v2, s12
	v_cndmask_b32_e64 v2, v2, v1, s[6:7]
	v_mov_b32_e32 v3, s9
	flat_load_dwordx2 v[12:13], v[2:3]
	s_andn2_b64 vcc, exec, s[18:19]
	v_pk_mov_b32 v[14:15], s[14:15], s[14:15] op_sel:[0,1]
	s_cbranch_vccnz .LBB59_4
; %bb.3:
	v_pk_mov_b32 v[2:3], s[12:13], s[12:13] op_sel:[0,1]
	flat_load_dwordx2 v[14:15], v[2:3] offset:8
.LBB59_4:
	s_waitcnt vmcnt(0) lgkmcnt(0)
	v_cmp_eq_f64_e32 vcc, 0, v[8:9]
	v_cmp_eq_f64_e64 s[6:7], 0, v[10:11]
	s_and_b64 s[12:13], vcc, s[6:7]
	s_mov_b64 s[6:7], -1
	s_and_saveexec_b64 s[10:11], s[12:13]
; %bb.5:
	v_cmp_neq_f64_e32 vcc, 1.0, v[12:13]
	v_cmp_neq_f64_e64 s[6:7], 0, v[14:15]
	s_or_b64 s[6:7], vcc, s[6:7]
	s_orn2_b64 s[6:7], s[6:7], exec
; %bb.6:
	s_or_b64 exec, exec, s[10:11]
	s_and_saveexec_b64 s[10:11], s[6:7]
	s_cbranch_execz .LBB59_31
; %bb.7:
	s_load_dword s6, s[4:5], 0xa4
	s_load_dwordx4 s[20:23], s[4:5], 0x0
	s_waitcnt lgkmcnt(0)
	s_and_b32 s6, s6, 0xffff
	s_mul_i32 s8, s8, s6
	v_add_u32_e32 v1, s8, v0
	v_lshrrev_b32_e32 v2, 6, v1
	v_cmp_gt_i32_e32 vcc, s21, v2
	s_and_b64 exec, exec, vcc
	s_cbranch_execz .LBB59_31
; %bb.8:
	s_cmp_lt_i32 s22, 1
	s_cbranch_scc1 .LBB59_31
; %bb.9:
	s_load_dwordx8 s[8:15], s[4:5], 0x30
	v_lshlrev_b32_e32 v2, 2, v2
	v_cmp_neq_f64_e32 vcc, 0, v[12:13]
	v_lshrrev_b32_e32 v5, 5, v1
	v_bfe_u32 v4, v1, 5, 1
	s_waitcnt lgkmcnt(0)
	global_load_dwordx2 v[2:3], v2, s[8:9]
	s_load_dwordx4 s[24:27], s[4:5], 0x70
	s_load_dwordx2 s[8:9], s[4:5], 0x50
	v_cmp_neq_f64_e64 s[4:5], 0, v[14:15]
	s_or_b64 s[18:19], vcc, s[4:5]
	v_and_b32_e32 v28, 31, v0
	v_lshrrev_b32_e32 v0, 5, v0
	v_mov_b32_e32 v1, 0xc00
	s_cmp_lg_u32 s16, 1
	v_lshl_or_b32 v29, v0, 7, v1
	v_mul_u32_u24_e32 v1, 3, v28
	s_cselect_b64 s[28:29], -1, 0
	s_cmp_eq_u32 s20, 0
	s_movk_i32 s6, 0x600
	v_lshlrev_b32_e32 v1, 4, v1
	s_cselect_b64 s[4:5], -1, 0
	v_mul_u32_u24_e32 v30, 0x600, v0
	v_mad_u32_u24 v32, v0, s6, v1
	v_cndmask_b32_e64 v7, 0, 1, s[4:5]
	s_waitcnt lgkmcnt(0)
	v_mad_u64_u32 v[0:1], s[6:7], v5, s26, 0
	v_lshlrev_b32_e32 v33, v7, v4
	v_mov_b32_e32 v4, v1
	v_lshlrev_b32_e32 v6, 4, v5
	s_and_b64 s[4:5], s[4:5], exec
	v_mad_u64_u32 v[4:5], s[4:5], v5, s27, v[4:5]
	v_mov_b32_e32 v16, s25
	v_add_co_u32_e32 v34, vcc, s24, v6
	v_mov_b32_e32 v1, v4
	v_addc_co_u32_e32 v35, vcc, 0, v16, vcc
	v_lshlrev_b64 v[0:1], 4, v[0:1]
	v_add_co_u32_e32 v36, vcc, s24, v0
	s_mov_b32 s23, 0
	v_lshl_or_b32 v31, v28, 2, v29
	s_cselect_b32 s16, 1, 2
	v_addc_co_u32_e32 v37, vcc, v16, v1, vcc
	v_mov_b32_e32 v17, 0
	s_waitcnt vmcnt(0)
	v_subrev_u32_e32 v38, s17, v2
	v_subrev_u32_e32 v39, s17, v3
	v_cmp_lt_i32_e64 s[4:5], v2, v3
	s_branch .LBB59_11
.LBB59_10:                              ;   in Loop: Header=BB59_11 Depth=1
	s_or_b64 exec, exec, s[6:7]
	s_add_i32 s23, s23, 32
	s_cmp_lt_i32 s23, s22
	s_cbranch_scc0 .LBB59_31
.LBB59_11:                              ; =>This Loop Header: Depth=1
                                        ;     Child Loop BB59_14 Depth 2
                                        ;       Child Loop BB59_18 Depth 3
	v_or_b32_e32 v18, s23, v28
	v_pk_mov_b32 v[20:21], 0, 0
	v_ashrrev_i32_e32 v19, 31, v18
	v_pk_mov_b32 v[22:23], v[20:21], v[20:21] op_sel:[0,1]
	s_and_saveexec_b64 s[20:21], s[4:5]
	s_cbranch_execz .LBB59_20
; %bb.12:                               ;   in Loop: Header=BB59_11 Depth=1
	v_lshlrev_b64 v[0:1], 4, v[18:19]
	v_mov_b32_e32 v2, s15
	v_add_co_u32_e64 v40, s[6:7], s14, v0
	v_pk_mov_b32 v[24:25], 0, 0
	v_cmp_gt_i32_e32 vcc, s22, v18
	v_addc_co_u32_e64 v41, s[6:7], v2, v1, s[6:7]
	s_mov_b64 s[24:25], 0
	v_mov_b32_e32 v42, v38
	v_pk_mov_b32 v[20:21], v[24:25], v[24:25] op_sel:[0,1]
	v_pk_mov_b32 v[22:23], v[24:25], v[24:25] op_sel:[0,1]
	s_branch .LBB59_14
.LBB59_13:                              ;   in Loop: Header=BB59_14 Depth=2
	s_or_b64 exec, exec, s[30:31]
	v_add_u32_e32 v42, 32, v42
	v_cmp_ge_i32_e64 s[6:7], v42, v39
	s_or_b64 s[24:25], s[6:7], s[24:25]
	s_andn2_b64 exec, exec, s[24:25]
	s_cbranch_execz .LBB59_19
.LBB59_14:                              ;   Parent Loop BB59_11 Depth=1
                                        ; =>  This Loop Header: Depth=2
                                        ;       Child Loop BB59_18 Depth 3
	v_add_u32_e32 v26, v42, v28
	v_cmp_lt_i32_e64 s[6:7], v26, v39
	v_mov_b32_e32 v16, 0
	v_pk_mov_b32 v[4:5], v[24:25], v[24:25] op_sel:[0,1]
	v_pk_mov_b32 v[6:7], v[24:25], v[24:25] op_sel:[0,1]
	;; [unrolled: 1-line block ×4, first 2 shown]
	s_and_saveexec_b64 s[30:31], s[6:7]
	s_cbranch_execz .LBB59_16
; %bb.15:                               ;   in Loop: Header=BB59_14 Depth=2
	v_ashrrev_i32_e32 v27, 31, v26
	v_lshlrev_b64 v[0:1], 2, v[26:27]
	v_mov_b32_e32 v2, s11
	v_add_co_u32_e64 v0, s[6:7], s10, v0
	v_addc_co_u32_e64 v1, s[6:7], v2, v1, s[6:7]
	v_lshl_or_b32 v16, v26, 2, v33
	global_load_dword v43, v[0:1], off
	v_lshlrev_b64 v[0:1], 4, v[16:17]
	v_mov_b32_e32 v2, s13
	v_add_co_u32_e64 v26, s[6:7], s12, v0
	v_or_b32_e32 v16, s16, v16
	v_addc_co_u32_e64 v27, s[6:7], v2, v1, s[6:7]
	v_lshlrev_b64 v[0:1], 4, v[16:17]
	v_add_co_u32_e64 v44, s[6:7], s12, v0
	v_addc_co_u32_e64 v45, s[6:7], v2, v1, s[6:7]
	global_load_dwordx4 v[4:7], v[26:27], off
	global_load_dwordx4 v[0:3], v[44:45], off
	s_waitcnt vmcnt(2)
	v_subrev_u32_e32 v16, s17, v43
	v_lshlrev_b32_e32 v16, 1, v16
.LBB59_16:                              ;   in Loop: Header=BB59_14 Depth=2
	s_or_b64 exec, exec, s[30:31]
	ds_write_b32 v31, v16
	s_waitcnt vmcnt(1)
	ds_write_b128 v32, v[4:7]
	s_waitcnt vmcnt(0)
	ds_write_b128 v32, v[0:3] offset:16
	s_waitcnt lgkmcnt(0)
	; wave barrier
	s_waitcnt lgkmcnt(0)
	s_and_saveexec_b64 s[30:31], vcc
	s_cbranch_execz .LBB59_13
; %bb.17:                               ;   in Loop: Header=BB59_14 Depth=2
	s_mov_b32 s33, 0
	v_mov_b32_e32 v0, v30
.LBB59_18:                              ;   Parent Loop BB59_11 Depth=1
                                        ;     Parent Loop BB59_14 Depth=2
                                        ; =>    This Inner Loop Header: Depth=3
	v_add_u32_e32 v1, s33, v29
	ds_read_b64 v[2:3], v1
	s_add_i32 s33, s33, 8
	s_cmpk_lg_i32 s33, 0x80
	s_waitcnt lgkmcnt(0)
	v_ashrrev_i32_e32 v1, 31, v2
	v_mul_lo_u32 v16, v2, s9
	v_mad_u64_u32 v[4:5], s[6:7], v2, s8, 0
	v_add_u32_e32 v27, 1, v3
	v_mul_lo_u32 v1, v1, s8
	v_add_u32_e32 v2, 1, v2
	v_ashrrev_i32_e32 v26, 31, v3
	v_ashrrev_i32_e32 v47, 31, v27
	v_add3_u32 v5, v5, v16, v1
	v_mul_lo_u32 v43, v3, s9
	v_mad_u64_u32 v[6:7], s[6:7], v3, s8, 0
	v_ashrrev_i32_e32 v44, 31, v2
	v_mul_lo_u32 v45, v2, s9
	v_mad_u64_u32 v[2:3], s[6:7], v2, s8, 0
	v_mul_lo_u32 v46, v26, s8
	v_mul_lo_u32 v48, v27, s9
	v_mad_u64_u32 v[26:27], s[6:7], v27, s8, 0
	v_mul_lo_u32 v16, v47, s8
	v_lshlrev_b64 v[4:5], 4, v[4:5]
	v_add3_u32 v7, v7, v43, v46
	v_add3_u32 v27, v27, v48, v16
	v_add_co_u32_e64 v48, s[6:7], v40, v4
	v_mul_lo_u32 v1, v44, s8
	v_lshlrev_b64 v[6:7], 4, v[6:7]
	v_addc_co_u32_e64 v49, s[6:7], v41, v5, s[6:7]
	v_add3_u32 v3, v3, v45, v1
	v_add_co_u32_e64 v6, s[6:7], v40, v6
	v_lshlrev_b64 v[2:3], 4, v[2:3]
	v_addc_co_u32_e64 v7, s[6:7], v41, v7, s[6:7]
	v_add_co_u32_e64 v50, s[6:7], v40, v2
	v_addc_co_u32_e64 v51, s[6:7], v41, v3, s[6:7]
	global_load_dwordx4 v[2:5], v[48:49], off
	global_load_dwordx4 v[44:47], v[6:7], off
	v_lshlrev_b64 v[26:27], 4, v[26:27]
	global_load_dwordx4 v[48:51], v[50:51], off
	v_add_co_u32_e64 v6, s[6:7], v40, v26
	v_addc_co_u32_e64 v7, s[6:7], v41, v27, s[6:7]
	global_load_dwordx4 v[52:55], v[6:7], off
	ds_read_b128 v[56:59], v0
	ds_read_b128 v[60:63], v0 offset:16
	ds_read_b128 v[64:67], v0 offset:48
	;; [unrolled: 1-line block ×3, first 2 shown]
	v_add_u32_e32 v0, 0x60, v0
	s_waitcnt vmcnt(3) lgkmcnt(3)
	v_fmac_f64_e32 v[22:23], v[56:57], v[2:3]
	v_fmac_f64_e32 v[20:21], v[58:59], v[2:3]
	v_fma_f64 v[2:3], -v[58:59], v[4:5], v[22:23]
	v_fmac_f64_e32 v[20:21], v[56:57], v[4:5]
	s_waitcnt vmcnt(1) lgkmcnt(2)
	v_fmac_f64_e32 v[2:3], v[60:61], v[48:49]
	v_fmac_f64_e32 v[20:21], v[62:63], v[48:49]
	v_fma_f64 v[2:3], -v[62:63], v[50:51], v[2:3]
	v_fmac_f64_e32 v[20:21], v[60:61], v[50:51]
	s_waitcnt lgkmcnt(1)
	v_fmac_f64_e32 v[2:3], v[64:65], v[44:45]
	v_fmac_f64_e32 v[20:21], v[66:67], v[44:45]
	v_fma_f64 v[2:3], -v[66:67], v[46:47], v[2:3]
	v_fmac_f64_e32 v[20:21], v[64:65], v[46:47]
	s_waitcnt vmcnt(0) lgkmcnt(0)
	v_fmac_f64_e32 v[2:3], v[68:69], v[52:53]
	v_fmac_f64_e32 v[20:21], v[70:71], v[52:53]
	v_fma_f64 v[22:23], -v[70:71], v[54:55], v[2:3]
	v_fmac_f64_e32 v[20:21], v[68:69], v[54:55]
	s_cbranch_scc1 .LBB59_18
	s_branch .LBB59_13
.LBB59_19:                              ;   in Loop: Header=BB59_11 Depth=1
	s_or_b64 exec, exec, s[24:25]
.LBB59_20:                              ;   in Loop: Header=BB59_11 Depth=1
	s_or_b64 exec, exec, s[20:21]
	v_cmp_gt_i32_e32 vcc, s22, v18
	s_and_saveexec_b64 s[6:7], vcc
	s_cbranch_execz .LBB59_10
; %bb.21:                               ;   in Loop: Header=BB59_11 Depth=1
	s_and_saveexec_b64 s[20:21], s[18:19]
	s_xor_b64 s[20:21], exec, s[20:21]
	s_cbranch_execz .LBB59_26
; %bb.22:                               ;   in Loop: Header=BB59_11 Depth=1
	s_mov_b64 s[24:25], -1
	s_and_b64 vcc, exec, s[28:29]
	s_cbranch_vccz .LBB59_24
; %bb.23:                               ;   in Loop: Header=BB59_11 Depth=1
	v_lshlrev_b64 v[0:1], 4, v[18:19]
	v_add_co_u32_e32 v24, vcc, v36, v0
	v_addc_co_u32_e32 v25, vcc, v37, v1, vcc
	global_load_dwordx4 v[0:3], v[24:25], off
	v_mul_f64 v[4:5], v[20:21], -v[10:11]
	v_mul_f64 v[6:7], v[8:9], v[20:21]
	v_fmac_f64_e32 v[4:5], v[8:9], v[22:23]
	v_fmac_f64_e32 v[6:7], v[10:11], v[22:23]
	s_mov_b64 s[24:25], 0
	s_waitcnt vmcnt(0)
	v_fmac_f64_e32 v[4:5], v[12:13], v[0:1]
	v_fmac_f64_e32 v[6:7], v[14:15], v[0:1]
	v_fma_f64 v[4:5], -v[14:15], v[2:3], v[4:5]
	v_fmac_f64_e32 v[6:7], v[12:13], v[2:3]
	global_store_dwordx4 v[24:25], v[4:7], off
.LBB59_24:                              ;   in Loop: Header=BB59_11 Depth=1
	s_andn2_b64 vcc, exec, s[24:25]
	s_cbranch_vccnz .LBB59_26
; %bb.25:                               ;   in Loop: Header=BB59_11 Depth=1
	v_mul_lo_u32 v2, v19, s26
	v_mul_lo_u32 v3, v18, s27
	v_mad_u64_u32 v[0:1], s[24:25], v18, s26, 0
	v_add3_u32 v1, v1, v3, v2
	v_lshlrev_b64 v[0:1], 4, v[0:1]
	v_add_co_u32_e32 v18, vcc, v34, v0
	v_addc_co_u32_e32 v19, vcc, v35, v1, vcc
	global_load_dwordx4 v[0:3], v[18:19], off
	v_mul_f64 v[4:5], v[20:21], -v[10:11]
	v_mul_f64 v[6:7], v[8:9], v[20:21]
	v_fmac_f64_e32 v[4:5], v[8:9], v[22:23]
	v_fmac_f64_e32 v[6:7], v[10:11], v[22:23]
                                        ; implicit-def: $vgpr20_vgpr21
                                        ; implicit-def: $vgpr22_vgpr23
	s_waitcnt vmcnt(0)
	v_fmac_f64_e32 v[4:5], v[12:13], v[0:1]
	v_fmac_f64_e32 v[6:7], v[14:15], v[0:1]
	v_fma_f64 v[4:5], -v[14:15], v[2:3], v[4:5]
	v_fmac_f64_e32 v[6:7], v[12:13], v[2:3]
	global_store_dwordx4 v[18:19], v[4:7], off
                                        ; implicit-def: $vgpr18
.LBB59_26:                              ;   in Loop: Header=BB59_11 Depth=1
	s_andn2_saveexec_b64 s[20:21], s[20:21]
	s_cbranch_execz .LBB59_10
; %bb.27:                               ;   in Loop: Header=BB59_11 Depth=1
	v_mul_f64 v[0:1], v[20:21], -v[10:11]
	v_mul_f64 v[2:3], v[8:9], v[20:21]
	v_fmac_f64_e32 v[0:1], v[8:9], v[22:23]
	v_fmac_f64_e32 v[2:3], v[10:11], v[22:23]
	s_mov_b64 s[20:21], -1
	s_and_b64 vcc, exec, s[28:29]
	s_cbranch_vccz .LBB59_29
; %bb.28:                               ;   in Loop: Header=BB59_11 Depth=1
	v_lshlrev_b64 v[4:5], 4, v[18:19]
	v_add_co_u32_e32 v4, vcc, v36, v4
	v_addc_co_u32_e32 v5, vcc, v37, v5, vcc
	global_store_dwordx4 v[4:5], v[0:3], off
	s_mov_b64 s[20:21], 0
.LBB59_29:                              ;   in Loop: Header=BB59_11 Depth=1
	s_andn2_b64 vcc, exec, s[20:21]
	s_cbranch_vccnz .LBB59_10
; %bb.30:                               ;   in Loop: Header=BB59_11 Depth=1
	v_mul_lo_u32 v6, v19, s26
	v_mul_lo_u32 v7, v18, s27
	v_mad_u64_u32 v[4:5], s[20:21], v18, s26, 0
	v_add3_u32 v5, v5, v7, v6
	v_lshlrev_b64 v[4:5], 4, v[4:5]
	v_add_co_u32_e32 v4, vcc, v34, v4
	v_addc_co_u32_e32 v5, vcc, v35, v5, vcc
	global_store_dwordx4 v[4:5], v[0:3], off
	s_branch .LBB59_10
.LBB59_31:
	s_endpgm
	.section	.rodata,"a",@progbits
	.p2align	6, 0x0
	.amdhsa_kernel _ZN9rocsparseL29bsrmmnt_small_blockdim_kernelILj64ELj32ELj2Eii21rocsparse_complex_numIdES2_S2_S2_EEv20rocsparse_direction_T3_S4_llNS_24const_host_device_scalarIT7_EEPKT2_PKS4_PKT4_PKT5_llS7_PT6_ll16rocsparse_order_21rocsparse_index_base_b
		.amdhsa_group_segment_fixed_size 3328
		.amdhsa_private_segment_fixed_size 24
		.amdhsa_kernarg_size 408
		.amdhsa_user_sgpr_count 8
		.amdhsa_user_sgpr_private_segment_buffer 1
		.amdhsa_user_sgpr_dispatch_ptr 0
		.amdhsa_user_sgpr_queue_ptr 0
		.amdhsa_user_sgpr_kernarg_segment_ptr 1
		.amdhsa_user_sgpr_dispatch_id 0
		.amdhsa_user_sgpr_flat_scratch_init 1
		.amdhsa_user_sgpr_kernarg_preload_length 0
		.amdhsa_user_sgpr_kernarg_preload_offset 0
		.amdhsa_user_sgpr_private_segment_size 0
		.amdhsa_uses_dynamic_stack 0
		.amdhsa_system_sgpr_private_segment_wavefront_offset 1
		.amdhsa_system_sgpr_workgroup_id_x 1
		.amdhsa_system_sgpr_workgroup_id_y 0
		.amdhsa_system_sgpr_workgroup_id_z 0
		.amdhsa_system_sgpr_workgroup_info 0
		.amdhsa_system_vgpr_workitem_id 0
		.amdhsa_next_free_vgpr 72
		.amdhsa_next_free_sgpr 34
		.amdhsa_accum_offset 72
		.amdhsa_reserve_vcc 1
		.amdhsa_reserve_flat_scratch 1
		.amdhsa_float_round_mode_32 0
		.amdhsa_float_round_mode_16_64 0
		.amdhsa_float_denorm_mode_32 3
		.amdhsa_float_denorm_mode_16_64 3
		.amdhsa_dx10_clamp 1
		.amdhsa_ieee_mode 1
		.amdhsa_fp16_overflow 0
		.amdhsa_tg_split 0
		.amdhsa_exception_fp_ieee_invalid_op 0
		.amdhsa_exception_fp_denorm_src 0
		.amdhsa_exception_fp_ieee_div_zero 0
		.amdhsa_exception_fp_ieee_overflow 0
		.amdhsa_exception_fp_ieee_underflow 0
		.amdhsa_exception_fp_ieee_inexact 0
		.amdhsa_exception_int_div_zero 0
	.end_amdhsa_kernel
	.section	.text._ZN9rocsparseL29bsrmmnt_small_blockdim_kernelILj64ELj32ELj2Eii21rocsparse_complex_numIdES2_S2_S2_EEv20rocsparse_direction_T3_S4_llNS_24const_host_device_scalarIT7_EEPKT2_PKS4_PKT4_PKT5_llS7_PT6_ll16rocsparse_order_21rocsparse_index_base_b,"axG",@progbits,_ZN9rocsparseL29bsrmmnt_small_blockdim_kernelILj64ELj32ELj2Eii21rocsparse_complex_numIdES2_S2_S2_EEv20rocsparse_direction_T3_S4_llNS_24const_host_device_scalarIT7_EEPKT2_PKS4_PKT4_PKT5_llS7_PT6_ll16rocsparse_order_21rocsparse_index_base_b,comdat
.Lfunc_end59:
	.size	_ZN9rocsparseL29bsrmmnt_small_blockdim_kernelILj64ELj32ELj2Eii21rocsparse_complex_numIdES2_S2_S2_EEv20rocsparse_direction_T3_S4_llNS_24const_host_device_scalarIT7_EEPKT2_PKS4_PKT4_PKT5_llS7_PT6_ll16rocsparse_order_21rocsparse_index_base_b, .Lfunc_end59-_ZN9rocsparseL29bsrmmnt_small_blockdim_kernelILj64ELj32ELj2Eii21rocsparse_complex_numIdES2_S2_S2_EEv20rocsparse_direction_T3_S4_llNS_24const_host_device_scalarIT7_EEPKT2_PKS4_PKT4_PKT5_llS7_PT6_ll16rocsparse_order_21rocsparse_index_base_b
                                        ; -- End function
	.section	.AMDGPU.csdata,"",@progbits
; Kernel info:
; codeLenInByte = 1844
; NumSgprs: 40
; NumVgprs: 72
; NumAgprs: 0
; TotalNumVgprs: 72
; ScratchSize: 24
; MemoryBound: 0
; FloatMode: 240
; IeeeMode: 1
; LDSByteSize: 3328 bytes/workgroup (compile time only)
; SGPRBlocks: 4
; VGPRBlocks: 8
; NumSGPRsForWavesPerEU: 40
; NumVGPRsForWavesPerEU: 72
; AccumOffset: 72
; Occupancy: 5
; WaveLimiterHint : 1
; COMPUTE_PGM_RSRC2:SCRATCH_EN: 1
; COMPUTE_PGM_RSRC2:USER_SGPR: 8
; COMPUTE_PGM_RSRC2:TRAP_HANDLER: 0
; COMPUTE_PGM_RSRC2:TGID_X_EN: 1
; COMPUTE_PGM_RSRC2:TGID_Y_EN: 0
; COMPUTE_PGM_RSRC2:TGID_Z_EN: 0
; COMPUTE_PGM_RSRC2:TIDIG_COMP_CNT: 0
; COMPUTE_PGM_RSRC3_GFX90A:ACCUM_OFFSET: 17
; COMPUTE_PGM_RSRC3_GFX90A:TG_SPLIT: 0
	.section	.text._ZN9rocsparseL29bsrmmnt_small_blockdim_kernelILj64ELj64ELj2Eii21rocsparse_complex_numIdES2_S2_S2_EEv20rocsparse_direction_T3_S4_llNS_24const_host_device_scalarIT7_EEPKT2_PKS4_PKT4_PKT5_llS7_PT6_ll16rocsparse_order_21rocsparse_index_base_b,"axG",@progbits,_ZN9rocsparseL29bsrmmnt_small_blockdim_kernelILj64ELj64ELj2Eii21rocsparse_complex_numIdES2_S2_S2_EEv20rocsparse_direction_T3_S4_llNS_24const_host_device_scalarIT7_EEPKT2_PKS4_PKT4_PKT5_llS7_PT6_ll16rocsparse_order_21rocsparse_index_base_b,comdat
	.globl	_ZN9rocsparseL29bsrmmnt_small_blockdim_kernelILj64ELj64ELj2Eii21rocsparse_complex_numIdES2_S2_S2_EEv20rocsparse_direction_T3_S4_llNS_24const_host_device_scalarIT7_EEPKT2_PKS4_PKT4_PKT5_llS7_PT6_ll16rocsparse_order_21rocsparse_index_base_b ; -- Begin function _ZN9rocsparseL29bsrmmnt_small_blockdim_kernelILj64ELj64ELj2Eii21rocsparse_complex_numIdES2_S2_S2_EEv20rocsparse_direction_T3_S4_llNS_24const_host_device_scalarIT7_EEPKT2_PKS4_PKT4_PKT5_llS7_PT6_ll16rocsparse_order_21rocsparse_index_base_b
	.p2align	8
	.type	_ZN9rocsparseL29bsrmmnt_small_blockdim_kernelILj64ELj64ELj2Eii21rocsparse_complex_numIdES2_S2_S2_EEv20rocsparse_direction_T3_S4_llNS_24const_host_device_scalarIT7_EEPKT2_PKS4_PKT4_PKT5_llS7_PT6_ll16rocsparse_order_21rocsparse_index_base_b,@function
_ZN9rocsparseL29bsrmmnt_small_blockdim_kernelILj64ELj64ELj2Eii21rocsparse_complex_numIdES2_S2_S2_EEv20rocsparse_direction_T3_S4_llNS_24const_host_device_scalarIT7_EEPKT2_PKS4_PKT4_PKT5_llS7_PT6_ll16rocsparse_order_21rocsparse_index_base_b: ; @_ZN9rocsparseL29bsrmmnt_small_blockdim_kernelILj64ELj64ELj2Eii21rocsparse_complex_numIdES2_S2_S2_EEv20rocsparse_direction_T3_S4_llNS_24const_host_device_scalarIT7_EEPKT2_PKS4_PKT4_PKT5_llS7_PT6_ll16rocsparse_order_21rocsparse_index_base_b
; %bb.0:
	s_add_u32 flat_scratch_lo, s6, s9
	s_load_dwordx4 s[16:19], s[4:5], 0x88
	s_load_dwordx4 s[20:23], s[4:5], 0x20
	s_addc_u32 flat_scratch_hi, s7, 0
	s_add_u32 s0, s0, s9
	s_load_dwordx4 s[12:15], s[4:5], 0x60
	s_addc_u32 s1, s1, 0
	s_waitcnt lgkmcnt(0)
	s_bitcmp1_b32 s18, 0
	v_mov_b32_e32 v1, 0
	v_mov_b32_e32 v3, s20
	s_cselect_b64 s[6:7], -1, 0
	v_cndmask_b32_e64 v2, v3, v1, s[6:7]
	v_mov_b32_e32 v1, s21
	s_mov_b64 s[10:11], src_private_base
	s_and_b64 vcc, s[6:7], exec
	buffer_store_dword v1, off, s[0:3], 0 offset:4
	buffer_store_dword v3, off, s[0:3], 0
	v_mov_b32_e32 v1, s13
	s_cselect_b32 s9, s11, s21
	buffer_store_dword v1, off, s[0:3], 0 offset:12
	v_mov_b32_e32 v1, s12
	buffer_store_dword v1, off, s[0:3], 0 offset:8
	v_mov_b32_e32 v3, s9
	flat_load_dwordx2 v[10:11], v[2:3]
	s_xor_b64 s[18:19], s[6:7], -1
	v_pk_mov_b32 v[12:13], s[22:23], s[22:23] op_sel:[0,1]
	s_cbranch_vccnz .LBB60_2
; %bb.1:
	v_pk_mov_b32 v[2:3], s[20:21], s[20:21] op_sel:[0,1]
	flat_load_dwordx2 v[12:13], v[2:3] offset:8
.LBB60_2:
	s_and_b64 s[20:21], s[6:7], exec
	s_cselect_b32 s9, s11, s13
	v_mov_b32_e32 v1, 8
	v_mov_b32_e32 v2, s12
	v_cndmask_b32_e64 v2, v2, v1, s[6:7]
	v_mov_b32_e32 v3, s9
	flat_load_dwordx2 v[14:15], v[2:3]
	s_andn2_b64 vcc, exec, s[18:19]
	v_pk_mov_b32 v[16:17], s[14:15], s[14:15] op_sel:[0,1]
	s_cbranch_vccnz .LBB60_4
; %bb.3:
	v_pk_mov_b32 v[2:3], s[12:13], s[12:13] op_sel:[0,1]
	flat_load_dwordx2 v[16:17], v[2:3] offset:8
.LBB60_4:
	s_waitcnt vmcnt(0) lgkmcnt(0)
	v_cmp_eq_f64_e32 vcc, 0, v[10:11]
	v_cmp_eq_f64_e64 s[6:7], 0, v[12:13]
	s_and_b64 s[12:13], vcc, s[6:7]
	s_mov_b64 s[6:7], -1
	s_and_saveexec_b64 s[10:11], s[12:13]
; %bb.5:
	v_cmp_neq_f64_e32 vcc, 1.0, v[14:15]
	v_cmp_neq_f64_e64 s[6:7], 0, v[16:17]
	s_or_b64 s[6:7], vcc, s[6:7]
	s_orn2_b64 s[6:7], s[6:7], exec
; %bb.6:
	s_or_b64 exec, exec, s[10:11]
	s_and_saveexec_b64 s[10:11], s[6:7]
	s_cbranch_execz .LBB60_31
; %bb.7:
	s_load_dword s6, s[4:5], 0xa4
	s_load_dwordx4 s[20:23], s[4:5], 0x0
	s_waitcnt lgkmcnt(0)
	s_and_b32 s6, s6, 0xffff
	s_mul_i32 s8, s8, s6
	v_add_u32_e32 v1, s8, v0
	v_lshrrev_b32_e32 v2, 7, v1
	v_cmp_gt_i32_e32 vcc, s21, v2
	s_and_b64 exec, exec, vcc
	s_cbranch_execz .LBB60_31
; %bb.8:
	s_cmp_lt_i32 s22, 1
	s_cbranch_scc1 .LBB60_31
; %bb.9:
	s_load_dwordx8 s[8:15], s[4:5], 0x30
	v_lshlrev_b32_e32 v2, 2, v2
	v_cmp_neq_f64_e32 vcc, 0, v[14:15]
	v_lshrrev_b32_e32 v7, 6, v1
	v_mul_u32_u24_e32 v4, 3, v0
	s_waitcnt lgkmcnt(0)
	global_load_dwordx2 v[2:3], v2, s[8:9]
	s_load_dwordx4 s[24:27], s[4:5], 0x70
	s_load_dwordx2 s[8:9], s[4:5], 0x50
	v_cmp_neq_f64_e64 s[4:5], 0, v[16:17]
	s_or_b64 s[18:19], vcc, s[4:5]
	s_cmp_lg_u32 s16, 1
	s_cselect_b64 s[28:29], -1, 0
	s_cmp_eq_u32 s20, 0
	s_cselect_b64 s[4:5], -1, 0
	v_bfe_u32 v6, v1, 6, 1
	v_lshlrev_b32_e32 v31, 4, v4
	v_cndmask_b32_e64 v9, 0, 1, s[4:5]
	s_waitcnt lgkmcnt(0)
	v_mad_u64_u32 v[4:5], s[6:7], v7, s26, 0
	v_lshlrev_b32_e32 v32, v9, v6
	v_mov_b32_e32 v6, v5
	v_lshlrev_b32_e32 v8, 4, v7
	s_and_b64 s[4:5], s[4:5], exec
	v_mad_u64_u32 v[6:7], s[4:5], v7, s27, v[6:7]
	v_mov_b32_e32 v18, s25
	v_add_co_u32_e32 v33, vcc, s24, v8
	v_mov_b32_e32 v5, v6
	v_addc_co_u32_e32 v34, vcc, 0, v18, vcc
	v_lshlrev_b64 v[4:5], 4, v[4:5]
	v_mov_b32_e32 v1, 0xc00
	v_add_co_u32_e32 v35, vcc, s24, v4
	s_mov_b32 s23, 0
	v_lshl_or_b32 v30, v0, 2, v1
	s_cselect_b32 s16, 1, 2
	v_addc_co_u32_e32 v36, vcc, v18, v5, vcc
	v_mov_b32_e32 v19, 0
	s_waitcnt vmcnt(0)
	v_subrev_u32_e32 v37, s17, v2
	v_subrev_u32_e32 v38, s17, v3
	v_cmp_lt_i32_e64 s[4:5], v2, v3
	s_branch .LBB60_11
.LBB60_10:                              ;   in Loop: Header=BB60_11 Depth=1
	s_or_b64 exec, exec, s[6:7]
	s_add_i32 s23, s23, 64
	s_cmp_lt_i32 s23, s22
	s_cbranch_scc0 .LBB60_31
.LBB60_11:                              ; =>This Loop Header: Depth=1
                                        ;     Child Loop BB60_14 Depth 2
                                        ;       Child Loop BB60_18 Depth 3
	v_or_b32_e32 v20, s23, v0
	v_pk_mov_b32 v[22:23], 0, 0
	v_ashrrev_i32_e32 v21, 31, v20
	v_pk_mov_b32 v[24:25], v[22:23], v[22:23] op_sel:[0,1]
	s_and_saveexec_b64 s[20:21], s[4:5]
	s_cbranch_execz .LBB60_20
; %bb.12:                               ;   in Loop: Header=BB60_11 Depth=1
	v_lshlrev_b64 v[2:3], 4, v[20:21]
	v_mov_b32_e32 v4, s15
	v_add_co_u32_e64 v39, s[6:7], s14, v2
	v_pk_mov_b32 v[26:27], 0, 0
	v_cmp_gt_i32_e32 vcc, s22, v20
	v_addc_co_u32_e64 v40, s[6:7], v4, v3, s[6:7]
	s_mov_b64 s[24:25], 0
	v_mov_b32_e32 v41, v37
	v_pk_mov_b32 v[22:23], v[26:27], v[26:27] op_sel:[0,1]
	v_pk_mov_b32 v[24:25], v[26:27], v[26:27] op_sel:[0,1]
	s_branch .LBB60_14
.LBB60_13:                              ;   in Loop: Header=BB60_14 Depth=2
	s_or_b64 exec, exec, s[30:31]
	v_add_u32_e32 v41, 64, v41
	v_cmp_ge_i32_e64 s[6:7], v41, v38
	s_or_b64 s[24:25], s[6:7], s[24:25]
	s_andn2_b64 exec, exec, s[24:25]
	s_cbranch_execz .LBB60_19
.LBB60_14:                              ;   Parent Loop BB60_11 Depth=1
                                        ; =>  This Loop Header: Depth=2
                                        ;       Child Loop BB60_18 Depth 3
	v_add_u32_e32 v28, v41, v0
	v_cmp_lt_i32_e64 s[6:7], v28, v38
	v_mov_b32_e32 v18, 0
	v_pk_mov_b32 v[6:7], v[26:27], v[26:27] op_sel:[0,1]
	v_pk_mov_b32 v[8:9], v[26:27], v[26:27] op_sel:[0,1]
	;; [unrolled: 1-line block ×4, first 2 shown]
	s_and_saveexec_b64 s[30:31], s[6:7]
	s_cbranch_execz .LBB60_16
; %bb.15:                               ;   in Loop: Header=BB60_14 Depth=2
	v_ashrrev_i32_e32 v29, 31, v28
	v_lshlrev_b64 v[2:3], 2, v[28:29]
	v_mov_b32_e32 v4, s11
	v_add_co_u32_e64 v2, s[6:7], s10, v2
	v_addc_co_u32_e64 v3, s[6:7], v4, v3, s[6:7]
	v_lshl_or_b32 v18, v28, 2, v32
	global_load_dword v44, v[2:3], off
	v_lshlrev_b64 v[2:3], 4, v[18:19]
	v_mov_b32_e32 v4, s13
	v_add_co_u32_e64 v28, s[6:7], s12, v2
	v_or_b32_e32 v18, s16, v18
	v_addc_co_u32_e64 v29, s[6:7], v4, v3, s[6:7]
	v_lshlrev_b64 v[2:3], 4, v[18:19]
	v_add_co_u32_e64 v42, s[6:7], s12, v2
	v_addc_co_u32_e64 v43, s[6:7], v4, v3, s[6:7]
	global_load_dwordx4 v[6:9], v[28:29], off
	global_load_dwordx4 v[2:5], v[42:43], off
	s_waitcnt vmcnt(2)
	v_subrev_u32_e32 v18, s17, v44
	v_lshlrev_b32_e32 v18, 1, v18
.LBB60_16:                              ;   in Loop: Header=BB60_14 Depth=2
	s_or_b64 exec, exec, s[30:31]
	ds_write_b32 v30, v18
	s_waitcnt vmcnt(1)
	ds_write_b128 v31, v[6:9]
	s_waitcnt vmcnt(0)
	ds_write_b128 v31, v[2:5] offset:16
	s_waitcnt lgkmcnt(0)
	; wave barrier
	s_waitcnt lgkmcnt(0)
	s_and_saveexec_b64 s[30:31], vcc
	s_cbranch_execz .LBB60_13
; %bb.17:                               ;   in Loop: Header=BB60_14 Depth=2
	s_mov_b32 s33, 0
	v_mov_b32_e32 v2, 0
.LBB60_18:                              ;   Parent Loop BB60_11 Depth=1
                                        ;     Parent Loop BB60_14 Depth=2
                                        ; =>    This Inner Loop Header: Depth=3
	v_add_u32_e32 v3, s33, v1
	ds_read_b64 v[4:5], v3
	s_add_i32 s33, s33, 8
	s_cmpk_lg_i32 s33, 0x100
	s_waitcnt lgkmcnt(0)
	v_ashrrev_i32_e32 v3, 31, v4
	v_mul_lo_u32 v18, v4, s9
	v_mad_u64_u32 v[6:7], s[6:7], v4, s8, 0
	v_mul_lo_u32 v3, v3, s8
	v_add_u32_e32 v4, 1, v4
	v_ashrrev_i32_e32 v28, 31, v5
	v_add_u32_e32 v29, 1, v5
	v_add3_u32 v7, v7, v18, v3
	v_mul_lo_u32 v42, v5, s9
	v_mad_u64_u32 v[8:9], s[6:7], v5, s8, 0
	v_ashrrev_i32_e32 v43, 31, v4
	v_mul_lo_u32 v44, v4, s9
	v_mad_u64_u32 v[4:5], s[6:7], v4, s8, 0
	v_mul_lo_u32 v45, v28, s8
	v_ashrrev_i32_e32 v46, 31, v29
	v_mul_lo_u32 v47, v29, s9
	v_mad_u64_u32 v[28:29], s[6:7], v29, s8, 0
	v_lshlrev_b64 v[6:7], 4, v[6:7]
	v_add3_u32 v9, v9, v42, v45
	v_mul_lo_u32 v18, v46, s8
	v_add_co_u32_e64 v46, s[6:7], v39, v6
	v_mul_lo_u32 v3, v43, s8
	v_lshlrev_b64 v[8:9], 4, v[8:9]
	v_add3_u32 v29, v29, v47, v18
	v_addc_co_u32_e64 v47, s[6:7], v40, v7, s[6:7]
	v_add3_u32 v5, v5, v44, v3
	v_add_co_u32_e64 v8, s[6:7], v39, v8
	v_lshlrev_b64 v[4:5], 4, v[4:5]
	v_addc_co_u32_e64 v9, s[6:7], v40, v9, s[6:7]
	v_add_co_u32_e64 v48, s[6:7], v39, v4
	v_addc_co_u32_e64 v49, s[6:7], v40, v5, s[6:7]
	global_load_dwordx4 v[4:7], v[46:47], off
	global_load_dwordx4 v[42:45], v[8:9], off
	v_lshlrev_b64 v[28:29], 4, v[28:29]
	global_load_dwordx4 v[46:49], v[48:49], off
	v_add_co_u32_e64 v8, s[6:7], v39, v28
	v_addc_co_u32_e64 v9, s[6:7], v40, v29, s[6:7]
	global_load_dwordx4 v[50:53], v[8:9], off
	ds_read_b128 v[54:57], v2
	ds_read_b128 v[58:61], v2 offset:16
	ds_read_b128 v[62:65], v2 offset:48
	;; [unrolled: 1-line block ×3, first 2 shown]
	v_add_u32_e32 v2, 0x60, v2
	s_waitcnt vmcnt(3) lgkmcnt(3)
	v_fmac_f64_e32 v[24:25], v[54:55], v[4:5]
	v_fmac_f64_e32 v[22:23], v[56:57], v[4:5]
	v_fma_f64 v[4:5], -v[56:57], v[6:7], v[24:25]
	v_fmac_f64_e32 v[22:23], v[54:55], v[6:7]
	s_waitcnt vmcnt(1) lgkmcnt(2)
	v_fmac_f64_e32 v[4:5], v[58:59], v[46:47]
	v_fmac_f64_e32 v[22:23], v[60:61], v[46:47]
	v_fma_f64 v[4:5], -v[60:61], v[48:49], v[4:5]
	v_fmac_f64_e32 v[22:23], v[58:59], v[48:49]
	s_waitcnt lgkmcnt(1)
	v_fmac_f64_e32 v[4:5], v[62:63], v[42:43]
	v_fmac_f64_e32 v[22:23], v[64:65], v[42:43]
	v_fma_f64 v[4:5], -v[64:65], v[44:45], v[4:5]
	v_fmac_f64_e32 v[22:23], v[62:63], v[44:45]
	s_waitcnt vmcnt(0) lgkmcnt(0)
	v_fmac_f64_e32 v[4:5], v[66:67], v[50:51]
	v_fmac_f64_e32 v[22:23], v[68:69], v[50:51]
	v_fma_f64 v[24:25], -v[68:69], v[52:53], v[4:5]
	v_fmac_f64_e32 v[22:23], v[66:67], v[52:53]
	s_cbranch_scc1 .LBB60_18
	s_branch .LBB60_13
.LBB60_19:                              ;   in Loop: Header=BB60_11 Depth=1
	s_or_b64 exec, exec, s[24:25]
.LBB60_20:                              ;   in Loop: Header=BB60_11 Depth=1
	s_or_b64 exec, exec, s[20:21]
	v_cmp_gt_i32_e32 vcc, s22, v20
	s_and_saveexec_b64 s[6:7], vcc
	s_cbranch_execz .LBB60_10
; %bb.21:                               ;   in Loop: Header=BB60_11 Depth=1
	s_and_saveexec_b64 s[20:21], s[18:19]
	s_xor_b64 s[20:21], exec, s[20:21]
	s_cbranch_execz .LBB60_26
; %bb.22:                               ;   in Loop: Header=BB60_11 Depth=1
	s_mov_b64 s[24:25], -1
	s_and_b64 vcc, exec, s[28:29]
	s_cbranch_vccz .LBB60_24
; %bb.23:                               ;   in Loop: Header=BB60_11 Depth=1
	v_lshlrev_b64 v[2:3], 4, v[20:21]
	v_add_co_u32_e32 v26, vcc, v35, v2
	v_addc_co_u32_e32 v27, vcc, v36, v3, vcc
	global_load_dwordx4 v[2:5], v[26:27], off
	v_mul_f64 v[6:7], v[22:23], -v[12:13]
	v_mul_f64 v[8:9], v[10:11], v[22:23]
	v_fmac_f64_e32 v[6:7], v[10:11], v[24:25]
	v_fmac_f64_e32 v[8:9], v[12:13], v[24:25]
	s_mov_b64 s[24:25], 0
	s_waitcnt vmcnt(0)
	v_fmac_f64_e32 v[6:7], v[14:15], v[2:3]
	v_fmac_f64_e32 v[8:9], v[16:17], v[2:3]
	v_fma_f64 v[6:7], -v[16:17], v[4:5], v[6:7]
	v_fmac_f64_e32 v[8:9], v[14:15], v[4:5]
	global_store_dwordx4 v[26:27], v[6:9], off
.LBB60_24:                              ;   in Loop: Header=BB60_11 Depth=1
	s_andn2_b64 vcc, exec, s[24:25]
	s_cbranch_vccnz .LBB60_26
; %bb.25:                               ;   in Loop: Header=BB60_11 Depth=1
	v_mul_lo_u32 v4, v21, s26
	v_mul_lo_u32 v5, v20, s27
	v_mad_u64_u32 v[2:3], s[24:25], v20, s26, 0
	v_add3_u32 v3, v3, v5, v4
	v_lshlrev_b64 v[2:3], 4, v[2:3]
	v_add_co_u32_e32 v20, vcc, v33, v2
	v_addc_co_u32_e32 v21, vcc, v34, v3, vcc
	global_load_dwordx4 v[2:5], v[20:21], off
	v_mul_f64 v[6:7], v[22:23], -v[12:13]
	v_mul_f64 v[8:9], v[10:11], v[22:23]
	v_fmac_f64_e32 v[6:7], v[10:11], v[24:25]
	v_fmac_f64_e32 v[8:9], v[12:13], v[24:25]
                                        ; implicit-def: $vgpr22_vgpr23
                                        ; implicit-def: $vgpr24_vgpr25
	s_waitcnt vmcnt(0)
	v_fmac_f64_e32 v[6:7], v[14:15], v[2:3]
	v_fmac_f64_e32 v[8:9], v[16:17], v[2:3]
	v_fma_f64 v[6:7], -v[16:17], v[4:5], v[6:7]
	v_fmac_f64_e32 v[8:9], v[14:15], v[4:5]
	global_store_dwordx4 v[20:21], v[6:9], off
                                        ; implicit-def: $vgpr20
.LBB60_26:                              ;   in Loop: Header=BB60_11 Depth=1
	s_andn2_saveexec_b64 s[20:21], s[20:21]
	s_cbranch_execz .LBB60_10
; %bb.27:                               ;   in Loop: Header=BB60_11 Depth=1
	v_mul_f64 v[2:3], v[22:23], -v[12:13]
	v_mul_f64 v[4:5], v[10:11], v[22:23]
	v_fmac_f64_e32 v[2:3], v[10:11], v[24:25]
	v_fmac_f64_e32 v[4:5], v[12:13], v[24:25]
	s_mov_b64 s[20:21], -1
	s_and_b64 vcc, exec, s[28:29]
	s_cbranch_vccz .LBB60_29
; %bb.28:                               ;   in Loop: Header=BB60_11 Depth=1
	v_lshlrev_b64 v[6:7], 4, v[20:21]
	v_add_co_u32_e32 v6, vcc, v35, v6
	v_addc_co_u32_e32 v7, vcc, v36, v7, vcc
	global_store_dwordx4 v[6:7], v[2:5], off
	s_mov_b64 s[20:21], 0
.LBB60_29:                              ;   in Loop: Header=BB60_11 Depth=1
	s_andn2_b64 vcc, exec, s[20:21]
	s_cbranch_vccnz .LBB60_10
; %bb.30:                               ;   in Loop: Header=BB60_11 Depth=1
	v_mul_lo_u32 v8, v21, s26
	v_mul_lo_u32 v9, v20, s27
	v_mad_u64_u32 v[6:7], s[20:21], v20, s26, 0
	v_add3_u32 v7, v7, v9, v8
	v_lshlrev_b64 v[6:7], 4, v[6:7]
	v_add_co_u32_e32 v6, vcc, v33, v6
	v_addc_co_u32_e32 v7, vcc, v34, v7, vcc
	global_store_dwordx4 v[6:7], v[2:5], off
	s_branch .LBB60_10
.LBB60_31:
	s_endpgm
	.section	.rodata,"a",@progbits
	.p2align	6, 0x0
	.amdhsa_kernel _ZN9rocsparseL29bsrmmnt_small_blockdim_kernelILj64ELj64ELj2Eii21rocsparse_complex_numIdES2_S2_S2_EEv20rocsparse_direction_T3_S4_llNS_24const_host_device_scalarIT7_EEPKT2_PKS4_PKT4_PKT5_llS7_PT6_ll16rocsparse_order_21rocsparse_index_base_b
		.amdhsa_group_segment_fixed_size 3328
		.amdhsa_private_segment_fixed_size 24
		.amdhsa_kernarg_size 408
		.amdhsa_user_sgpr_count 8
		.amdhsa_user_sgpr_private_segment_buffer 1
		.amdhsa_user_sgpr_dispatch_ptr 0
		.amdhsa_user_sgpr_queue_ptr 0
		.amdhsa_user_sgpr_kernarg_segment_ptr 1
		.amdhsa_user_sgpr_dispatch_id 0
		.amdhsa_user_sgpr_flat_scratch_init 1
		.amdhsa_user_sgpr_kernarg_preload_length 0
		.amdhsa_user_sgpr_kernarg_preload_offset 0
		.amdhsa_user_sgpr_private_segment_size 0
		.amdhsa_uses_dynamic_stack 0
		.amdhsa_system_sgpr_private_segment_wavefront_offset 1
		.amdhsa_system_sgpr_workgroup_id_x 1
		.amdhsa_system_sgpr_workgroup_id_y 0
		.amdhsa_system_sgpr_workgroup_id_z 0
		.amdhsa_system_sgpr_workgroup_info 0
		.amdhsa_system_vgpr_workitem_id 0
		.amdhsa_next_free_vgpr 70
		.amdhsa_next_free_sgpr 34
		.amdhsa_accum_offset 72
		.amdhsa_reserve_vcc 1
		.amdhsa_reserve_flat_scratch 1
		.amdhsa_float_round_mode_32 0
		.amdhsa_float_round_mode_16_64 0
		.amdhsa_float_denorm_mode_32 3
		.amdhsa_float_denorm_mode_16_64 3
		.amdhsa_dx10_clamp 1
		.amdhsa_ieee_mode 1
		.amdhsa_fp16_overflow 0
		.amdhsa_tg_split 0
		.amdhsa_exception_fp_ieee_invalid_op 0
		.amdhsa_exception_fp_denorm_src 0
		.amdhsa_exception_fp_ieee_div_zero 0
		.amdhsa_exception_fp_ieee_overflow 0
		.amdhsa_exception_fp_ieee_underflow 0
		.amdhsa_exception_fp_ieee_inexact 0
		.amdhsa_exception_int_div_zero 0
	.end_amdhsa_kernel
	.section	.text._ZN9rocsparseL29bsrmmnt_small_blockdim_kernelILj64ELj64ELj2Eii21rocsparse_complex_numIdES2_S2_S2_EEv20rocsparse_direction_T3_S4_llNS_24const_host_device_scalarIT7_EEPKT2_PKS4_PKT4_PKT5_llS7_PT6_ll16rocsparse_order_21rocsparse_index_base_b,"axG",@progbits,_ZN9rocsparseL29bsrmmnt_small_blockdim_kernelILj64ELj64ELj2Eii21rocsparse_complex_numIdES2_S2_S2_EEv20rocsparse_direction_T3_S4_llNS_24const_host_device_scalarIT7_EEPKT2_PKS4_PKT4_PKT5_llS7_PT6_ll16rocsparse_order_21rocsparse_index_base_b,comdat
.Lfunc_end60:
	.size	_ZN9rocsparseL29bsrmmnt_small_blockdim_kernelILj64ELj64ELj2Eii21rocsparse_complex_numIdES2_S2_S2_EEv20rocsparse_direction_T3_S4_llNS_24const_host_device_scalarIT7_EEPKT2_PKS4_PKT4_PKT5_llS7_PT6_ll16rocsparse_order_21rocsparse_index_base_b, .Lfunc_end60-_ZN9rocsparseL29bsrmmnt_small_blockdim_kernelILj64ELj64ELj2Eii21rocsparse_complex_numIdES2_S2_S2_EEv20rocsparse_direction_T3_S4_llNS_24const_host_device_scalarIT7_EEPKT2_PKS4_PKT4_PKT5_llS7_PT6_ll16rocsparse_order_21rocsparse_index_base_b
                                        ; -- End function
	.section	.AMDGPU.csdata,"",@progbits
; Kernel info:
; codeLenInByte = 1808
; NumSgprs: 40
; NumVgprs: 70
; NumAgprs: 0
; TotalNumVgprs: 70
; ScratchSize: 24
; MemoryBound: 0
; FloatMode: 240
; IeeeMode: 1
; LDSByteSize: 3328 bytes/workgroup (compile time only)
; SGPRBlocks: 4
; VGPRBlocks: 8
; NumSGPRsForWavesPerEU: 40
; NumVGPRsForWavesPerEU: 70
; AccumOffset: 72
; Occupancy: 5
; WaveLimiterHint : 1
; COMPUTE_PGM_RSRC2:SCRATCH_EN: 1
; COMPUTE_PGM_RSRC2:USER_SGPR: 8
; COMPUTE_PGM_RSRC2:TRAP_HANDLER: 0
; COMPUTE_PGM_RSRC2:TGID_X_EN: 1
; COMPUTE_PGM_RSRC2:TGID_Y_EN: 0
; COMPUTE_PGM_RSRC2:TGID_Z_EN: 0
; COMPUTE_PGM_RSRC2:TIDIG_COMP_CNT: 0
; COMPUTE_PGM_RSRC3_GFX90A:ACCUM_OFFSET: 17
; COMPUTE_PGM_RSRC3_GFX90A:TG_SPLIT: 0
	.section	.text._ZN9rocsparseL29bsrmmnt_small_blockdim_kernelILj64ELj8ELj2Eli21rocsparse_complex_numIdES2_S2_S2_EEv20rocsparse_direction_T3_S4_llNS_24const_host_device_scalarIT7_EEPKT2_PKS4_PKT4_PKT5_llS7_PT6_ll16rocsparse_order_21rocsparse_index_base_b,"axG",@progbits,_ZN9rocsparseL29bsrmmnt_small_blockdim_kernelILj64ELj8ELj2Eli21rocsparse_complex_numIdES2_S2_S2_EEv20rocsparse_direction_T3_S4_llNS_24const_host_device_scalarIT7_EEPKT2_PKS4_PKT4_PKT5_llS7_PT6_ll16rocsparse_order_21rocsparse_index_base_b,comdat
	.globl	_ZN9rocsparseL29bsrmmnt_small_blockdim_kernelILj64ELj8ELj2Eli21rocsparse_complex_numIdES2_S2_S2_EEv20rocsparse_direction_T3_S4_llNS_24const_host_device_scalarIT7_EEPKT2_PKS4_PKT4_PKT5_llS7_PT6_ll16rocsparse_order_21rocsparse_index_base_b ; -- Begin function _ZN9rocsparseL29bsrmmnt_small_blockdim_kernelILj64ELj8ELj2Eli21rocsparse_complex_numIdES2_S2_S2_EEv20rocsparse_direction_T3_S4_llNS_24const_host_device_scalarIT7_EEPKT2_PKS4_PKT4_PKT5_llS7_PT6_ll16rocsparse_order_21rocsparse_index_base_b
	.p2align	8
	.type	_ZN9rocsparseL29bsrmmnt_small_blockdim_kernelILj64ELj8ELj2Eli21rocsparse_complex_numIdES2_S2_S2_EEv20rocsparse_direction_T3_S4_llNS_24const_host_device_scalarIT7_EEPKT2_PKS4_PKT4_PKT5_llS7_PT6_ll16rocsparse_order_21rocsparse_index_base_b,@function
_ZN9rocsparseL29bsrmmnt_small_blockdim_kernelILj64ELj8ELj2Eli21rocsparse_complex_numIdES2_S2_S2_EEv20rocsparse_direction_T3_S4_llNS_24const_host_device_scalarIT7_EEPKT2_PKS4_PKT4_PKT5_llS7_PT6_ll16rocsparse_order_21rocsparse_index_base_b: ; @_ZN9rocsparseL29bsrmmnt_small_blockdim_kernelILj64ELj8ELj2Eli21rocsparse_complex_numIdES2_S2_S2_EEv20rocsparse_direction_T3_S4_llNS_24const_host_device_scalarIT7_EEPKT2_PKS4_PKT4_PKT5_llS7_PT6_ll16rocsparse_order_21rocsparse_index_base_b
; %bb.0:
	s_add_u32 flat_scratch_lo, s6, s9
	s_load_dwordx4 s[16:19], s[4:5], 0x88
	s_load_dwordx4 s[20:23], s[4:5], 0x20
	s_addc_u32 flat_scratch_hi, s7, 0
	s_add_u32 s0, s0, s9
	s_load_dwordx4 s[12:15], s[4:5], 0x60
	s_addc_u32 s1, s1, 0
	s_waitcnt lgkmcnt(0)
	s_bitcmp1_b32 s18, 0
	v_mov_b32_e32 v1, 0
	v_mov_b32_e32 v3, s20
	s_cselect_b64 s[6:7], -1, 0
	v_cndmask_b32_e64 v2, v3, v1, s[6:7]
	v_mov_b32_e32 v1, s21
	s_mov_b64 s[10:11], src_private_base
	s_and_b64 vcc, s[6:7], exec
	buffer_store_dword v1, off, s[0:3], 0 offset:4
	buffer_store_dword v3, off, s[0:3], 0
	v_mov_b32_e32 v1, s13
	s_cselect_b32 s9, s11, s21
	buffer_store_dword v1, off, s[0:3], 0 offset:12
	v_mov_b32_e32 v1, s12
	buffer_store_dword v1, off, s[0:3], 0 offset:8
	v_mov_b32_e32 v3, s9
	flat_load_dwordx2 v[8:9], v[2:3]
	s_xor_b64 s[18:19], s[6:7], -1
	v_pk_mov_b32 v[10:11], s[22:23], s[22:23] op_sel:[0,1]
	s_cbranch_vccnz .LBB61_2
; %bb.1:
	v_pk_mov_b32 v[2:3], s[20:21], s[20:21] op_sel:[0,1]
	flat_load_dwordx2 v[10:11], v[2:3] offset:8
.LBB61_2:
	s_and_b64 s[20:21], s[6:7], exec
	s_cselect_b32 s9, s11, s13
	v_mov_b32_e32 v1, 8
	v_mov_b32_e32 v2, s12
	v_cndmask_b32_e64 v2, v2, v1, s[6:7]
	v_mov_b32_e32 v3, s9
	flat_load_dwordx2 v[12:13], v[2:3]
	s_andn2_b64 vcc, exec, s[18:19]
	v_pk_mov_b32 v[14:15], s[14:15], s[14:15] op_sel:[0,1]
	s_cbranch_vccnz .LBB61_4
; %bb.3:
	v_pk_mov_b32 v[2:3], s[12:13], s[12:13] op_sel:[0,1]
	flat_load_dwordx2 v[14:15], v[2:3] offset:8
.LBB61_4:
	s_waitcnt vmcnt(0) lgkmcnt(0)
	v_cmp_eq_f64_e32 vcc, 0, v[8:9]
	v_cmp_eq_f64_e64 s[6:7], 0, v[10:11]
	s_and_b64 s[12:13], vcc, s[6:7]
	s_mov_b64 s[6:7], -1
	s_and_saveexec_b64 s[10:11], s[12:13]
; %bb.5:
	v_cmp_neq_f64_e32 vcc, 1.0, v[12:13]
	v_cmp_neq_f64_e64 s[6:7], 0, v[14:15]
	s_or_b64 s[6:7], vcc, s[6:7]
	s_orn2_b64 s[6:7], s[6:7], exec
; %bb.6:
	s_or_b64 exec, exec, s[10:11]
	s_and_saveexec_b64 s[10:11], s[6:7]
	s_cbranch_execz .LBB61_31
; %bb.7:
	s_load_dword s6, s[4:5], 0xa4
	s_load_dwordx4 s[20:23], s[4:5], 0x0
	s_waitcnt lgkmcnt(0)
	s_and_b32 s6, s6, 0xffff
	s_mul_i32 s8, s8, s6
	v_add_u32_e32 v1, s8, v0
	v_lshrrev_b32_e32 v2, 4, v1
	v_cmp_gt_i32_e32 vcc, s21, v2
	s_and_b64 exec, exec, vcc
	s_cbranch_execz .LBB61_31
; %bb.8:
	s_cmp_lt_i32 s22, 1
	s_cbranch_scc1 .LBB61_31
; %bb.9:
	s_load_dwordx8 s[8:15], s[4:5], 0x30
	v_lshlrev_b32_e32 v2, 3, v2
	v_and_b32_e32 v16, 7, v0
	v_cmp_neq_f64_e32 vcc, 0, v[12:13]
	v_lshrrev_b32_e32 v6, 3, v1
	s_waitcnt lgkmcnt(0)
	global_load_dwordx4 v[2:5], v2, s[8:9]
	s_load_dwordx4 s[24:27], s[4:5], 0x70
	s_load_dwordx2 s[8:9], s[4:5], 0x50
	v_cmp_neq_f64_e64 s[4:5], 0, v[14:15]
	v_lshrrev_b32_e32 v18, 3, v0
	v_mov_b32_e32 v7, 0
	v_mov_b32_e32 v0, 0xc00
	s_or_b64 s[18:19], vcc, s[4:5]
	v_mul_u32_u24_e32 v19, 3, v16
	v_bfe_u32 v22, v1, 3, 1
	s_movk_i32 s6, 0x180
	v_lshl_or_b32 v17, v18, 5, v0
	v_lshlrev_b64 v[0:1], 4, v[6:7]
	s_cmp_lg_u32 s16, 1
	v_lshlrev_b32_e32 v7, 4, v19
	v_mul_u32_u24_e32 v23, 0x180, v18
	s_cselect_b64 s[28:29], -1, 0
	s_cmp_eq_u32 s20, 0
	v_mad_u32_u24 v37, v18, s6, v7
	s_waitcnt lgkmcnt(0)
	v_mad_u64_u32 v[18:19], s[6:7], v6, s26, 0
	s_cselect_b64 s[4:5], -1, 0
	v_mov_b32_e32 v21, s25
	v_mov_b32_e32 v20, v19
	v_add_co_u32_e32 v38, vcc, s24, v0
	v_cndmask_b32_e64 v7, 0, 1, s[4:5]
	s_and_b64 s[4:5], s[4:5], exec
	v_addc_co_u32_e32 v39, vcc, v21, v1, vcc
	v_mad_u64_u32 v[0:1], s[4:5], v6, s27, v[20:21]
	v_mov_b32_e32 v19, v0
	v_lshlrev_b64 v[0:1], 4, v[18:19]
	v_add_co_u32_e32 v40, vcc, s24, v0
	v_addc_co_u32_e32 v41, vcc, v21, v1, vcc
	s_mov_b32 s23, 0
	v_lshl_or_b32 v36, v16, 2, v17
	s_cselect_b32 s16, 1, 2
	v_lshlrev_b32_e32 v22, v7, v22
	s_waitcnt vmcnt(0)
	v_subrev_co_u32_e32 v18, vcc, s17, v2
	v_subbrev_co_u32_e32 v19, vcc, 0, v3, vcc
	v_subrev_co_u32_e32 v20, vcc, s17, v4
	v_subbrev_co_u32_e32 v21, vcc, 0, v5, vcc
	v_cmp_lt_i64_e64 s[4:5], v[2:3], v[4:5]
	s_branch .LBB61_11
.LBB61_10:                              ;   in Loop: Header=BB61_11 Depth=1
	s_or_b64 exec, exec, s[6:7]
	s_add_i32 s23, s23, 8
	s_cmp_lt_i32 s23, s22
	s_cbranch_scc0 .LBB61_31
.LBB61_11:                              ; =>This Loop Header: Depth=1
                                        ;     Child Loop BB61_14 Depth 2
                                        ;       Child Loop BB61_18 Depth 3
	v_or_b32_e32 v24, s23, v16
	v_pk_mov_b32 v[26:27], 0, 0
	v_ashrrev_i32_e32 v25, 31, v24
	v_pk_mov_b32 v[28:29], v[26:27], v[26:27] op_sel:[0,1]
	s_and_saveexec_b64 s[20:21], s[4:5]
	s_cbranch_execz .LBB61_20
; %bb.12:                               ;   in Loop: Header=BB61_11 Depth=1
	v_lshlrev_b64 v[0:1], 4, v[24:25]
	v_mov_b32_e32 v2, s15
	v_add_co_u32_e64 v42, s[6:7], s14, v0
	v_pk_mov_b32 v[30:31], 0, 0
	v_cmp_gt_i32_e32 vcc, s22, v24
	v_addc_co_u32_e64 v43, s[6:7], v2, v1, s[6:7]
	s_mov_b64 s[24:25], 0
	v_pk_mov_b32 v[32:33], v[18:19], v[18:19] op_sel:[0,1]
	v_pk_mov_b32 v[26:27], v[30:31], v[30:31] op_sel:[0,1]
	;; [unrolled: 1-line block ×3, first 2 shown]
	s_branch .LBB61_14
.LBB61_13:                              ;   in Loop: Header=BB61_14 Depth=2
	s_or_b64 exec, exec, s[30:31]
	v_add_co_u32_e64 v32, s[6:7], 8, v32
	v_addc_co_u32_e64 v33, s[6:7], 0, v33, s[6:7]
	v_cmp_ge_i64_e64 s[6:7], v[32:33], v[20:21]
	s_or_b64 s[24:25], s[6:7], s[24:25]
	s_andn2_b64 exec, exec, s[24:25]
	s_cbranch_execz .LBB61_19
.LBB61_14:                              ;   Parent Loop BB61_11 Depth=1
                                        ; =>  This Loop Header: Depth=2
                                        ;       Child Loop BB61_18 Depth 3
	v_add_co_u32_e64 v34, s[6:7], v32, v16
	v_addc_co_u32_e64 v35, s[6:7], 0, v33, s[6:7]
	v_cmp_lt_i64_e64 s[6:7], v[34:35], v[20:21]
	v_mov_b32_e32 v44, 0
	v_pk_mov_b32 v[4:5], v[30:31], v[30:31] op_sel:[0,1]
	v_pk_mov_b32 v[6:7], v[30:31], v[30:31] op_sel:[0,1]
	;; [unrolled: 1-line block ×4, first 2 shown]
	s_and_saveexec_b64 s[30:31], s[6:7]
	s_cbranch_execz .LBB61_16
; %bb.15:                               ;   in Loop: Header=BB61_14 Depth=2
	v_lshlrev_b64 v[0:1], 2, v[34:35]
	v_mov_b32_e32 v3, s11
	v_add_co_u32_e64 v2, s[6:7], s10, v0
	v_addc_co_u32_e64 v3, s[6:7], v3, v1, s[6:7]
	v_or_b32_e32 v1, 0, v1
	v_or_b32_e32 v0, v0, v22
	global_load_dword v46, v[2:3], off
	v_lshlrev_b64 v[2:3], 4, v[0:1]
	v_mov_b32_e32 v4, s13
	v_add_co_u32_e64 v34, s[6:7], s12, v2
	v_or_b32_e32 v1, 0, v1
	v_or_b32_e32 v0, s16, v0
	v_addc_co_u32_e64 v35, s[6:7], v4, v3, s[6:7]
	v_lshlrev_b64 v[0:1], 4, v[0:1]
	v_add_co_u32_e64 v44, s[6:7], s12, v0
	v_addc_co_u32_e64 v45, s[6:7], v4, v1, s[6:7]
	global_load_dwordx4 v[4:7], v[34:35], off
	global_load_dwordx4 v[0:3], v[44:45], off
	s_waitcnt vmcnt(2)
	v_subrev_u32_e32 v34, s17, v46
	v_lshlrev_b32_e32 v44, 1, v34
.LBB61_16:                              ;   in Loop: Header=BB61_14 Depth=2
	s_or_b64 exec, exec, s[30:31]
	ds_write_b32 v36, v44
	s_waitcnt vmcnt(1)
	ds_write_b128 v37, v[4:7]
	s_waitcnt vmcnt(0)
	ds_write_b128 v37, v[0:3] offset:16
	s_waitcnt lgkmcnt(0)
	; wave barrier
	s_waitcnt lgkmcnt(0)
	s_and_saveexec_b64 s[30:31], vcc
	s_cbranch_execz .LBB61_13
; %bb.17:                               ;   in Loop: Header=BB61_14 Depth=2
	s_mov_b32 s33, 0
	v_mov_b32_e32 v0, v23
.LBB61_18:                              ;   Parent Loop BB61_11 Depth=1
                                        ;     Parent Loop BB61_14 Depth=2
                                        ; =>    This Inner Loop Header: Depth=3
	v_add_u32_e32 v1, s33, v17
	ds_read_b64 v[2:3], v1
	s_add_i32 s33, s33, 8
	s_cmp_lg_u32 s33, 32
	s_waitcnt lgkmcnt(0)
	v_ashrrev_i32_e32 v1, 31, v2
	v_mul_lo_u32 v44, v2, s9
	v_mad_u64_u32 v[4:5], s[6:7], v2, s8, 0
	v_mul_lo_u32 v1, v1, s8
	v_add_u32_e32 v2, 1, v2
	v_ashrrev_i32_e32 v34, 31, v3
	v_add_u32_e32 v35, 1, v3
	v_add3_u32 v5, v5, v44, v1
	v_mul_lo_u32 v45, v3, s9
	v_mad_u64_u32 v[6:7], s[6:7], v3, s8, 0
	v_ashrrev_i32_e32 v46, 31, v2
	v_mul_lo_u32 v47, v2, s9
	v_mad_u64_u32 v[2:3], s[6:7], v2, s8, 0
	v_mul_lo_u32 v48, v34, s8
	v_ashrrev_i32_e32 v49, 31, v35
	v_mul_lo_u32 v50, v35, s9
	v_mad_u64_u32 v[34:35], s[6:7], v35, s8, 0
	v_lshlrev_b64 v[4:5], 4, v[4:5]
	v_add3_u32 v7, v7, v45, v48
	v_add_co_u32_e64 v48, s[6:7], v42, v4
	v_mul_lo_u32 v1, v46, s8
	v_mul_lo_u32 v44, v49, s8
	v_lshlrev_b64 v[6:7], 4, v[6:7]
	v_addc_co_u32_e64 v49, s[6:7], v43, v5, s[6:7]
	v_add3_u32 v3, v3, v47, v1
	v_add_co_u32_e64 v6, s[6:7], v42, v6
	v_lshlrev_b64 v[2:3], 4, v[2:3]
	v_addc_co_u32_e64 v7, s[6:7], v43, v7, s[6:7]
	v_add3_u32 v35, v35, v50, v44
	v_add_co_u32_e64 v50, s[6:7], v42, v2
	v_addc_co_u32_e64 v51, s[6:7], v43, v3, s[6:7]
	global_load_dwordx4 v[2:5], v[48:49], off
	global_load_dwordx4 v[44:47], v[6:7], off
	v_lshlrev_b64 v[34:35], 4, v[34:35]
	global_load_dwordx4 v[48:51], v[50:51], off
	v_add_co_u32_e64 v6, s[6:7], v42, v34
	v_addc_co_u32_e64 v7, s[6:7], v43, v35, s[6:7]
	global_load_dwordx4 v[52:55], v[6:7], off
	ds_read_b128 v[56:59], v0
	ds_read_b128 v[60:63], v0 offset:16
	ds_read_b128 v[64:67], v0 offset:48
	;; [unrolled: 1-line block ×3, first 2 shown]
	v_add_u32_e32 v0, 0x60, v0
	s_waitcnt vmcnt(3) lgkmcnt(3)
	v_fmac_f64_e32 v[28:29], v[56:57], v[2:3]
	v_fmac_f64_e32 v[26:27], v[58:59], v[2:3]
	v_fma_f64 v[2:3], -v[58:59], v[4:5], v[28:29]
	v_fmac_f64_e32 v[26:27], v[56:57], v[4:5]
	s_waitcnt vmcnt(1) lgkmcnt(2)
	v_fmac_f64_e32 v[2:3], v[60:61], v[48:49]
	v_fmac_f64_e32 v[26:27], v[62:63], v[48:49]
	v_fma_f64 v[2:3], -v[62:63], v[50:51], v[2:3]
	v_fmac_f64_e32 v[26:27], v[60:61], v[50:51]
	s_waitcnt lgkmcnt(1)
	v_fmac_f64_e32 v[2:3], v[64:65], v[44:45]
	v_fmac_f64_e32 v[26:27], v[66:67], v[44:45]
	v_fma_f64 v[2:3], -v[66:67], v[46:47], v[2:3]
	v_fmac_f64_e32 v[26:27], v[64:65], v[46:47]
	s_waitcnt vmcnt(0) lgkmcnt(0)
	v_fmac_f64_e32 v[2:3], v[68:69], v[52:53]
	v_fmac_f64_e32 v[26:27], v[70:71], v[52:53]
	v_fma_f64 v[28:29], -v[70:71], v[54:55], v[2:3]
	v_fmac_f64_e32 v[26:27], v[68:69], v[54:55]
	s_cbranch_scc1 .LBB61_18
	s_branch .LBB61_13
.LBB61_19:                              ;   in Loop: Header=BB61_11 Depth=1
	s_or_b64 exec, exec, s[24:25]
.LBB61_20:                              ;   in Loop: Header=BB61_11 Depth=1
	s_or_b64 exec, exec, s[20:21]
	v_cmp_gt_i32_e32 vcc, s22, v24
	s_and_saveexec_b64 s[6:7], vcc
	s_cbranch_execz .LBB61_10
; %bb.21:                               ;   in Loop: Header=BB61_11 Depth=1
	s_and_saveexec_b64 s[20:21], s[18:19]
	s_xor_b64 s[20:21], exec, s[20:21]
	s_cbranch_execz .LBB61_26
; %bb.22:                               ;   in Loop: Header=BB61_11 Depth=1
	s_mov_b64 s[24:25], -1
	s_and_b64 vcc, exec, s[28:29]
	s_cbranch_vccz .LBB61_24
; %bb.23:                               ;   in Loop: Header=BB61_11 Depth=1
	v_lshlrev_b64 v[0:1], 4, v[24:25]
	v_add_co_u32_e32 v30, vcc, v40, v0
	v_addc_co_u32_e32 v31, vcc, v41, v1, vcc
	global_load_dwordx4 v[0:3], v[30:31], off
	v_mul_f64 v[4:5], v[26:27], -v[10:11]
	v_mul_f64 v[6:7], v[8:9], v[26:27]
	v_fmac_f64_e32 v[4:5], v[8:9], v[28:29]
	v_fmac_f64_e32 v[6:7], v[10:11], v[28:29]
	s_mov_b64 s[24:25], 0
	s_waitcnt vmcnt(0)
	v_fmac_f64_e32 v[4:5], v[12:13], v[0:1]
	v_fmac_f64_e32 v[6:7], v[14:15], v[0:1]
	v_fma_f64 v[4:5], -v[14:15], v[2:3], v[4:5]
	v_fmac_f64_e32 v[6:7], v[12:13], v[2:3]
	global_store_dwordx4 v[30:31], v[4:7], off
.LBB61_24:                              ;   in Loop: Header=BB61_11 Depth=1
	s_andn2_b64 vcc, exec, s[24:25]
	s_cbranch_vccnz .LBB61_26
; %bb.25:                               ;   in Loop: Header=BB61_11 Depth=1
	v_mul_lo_u32 v2, v25, s26
	v_mul_lo_u32 v3, v24, s27
	v_mad_u64_u32 v[0:1], s[24:25], v24, s26, 0
	v_add3_u32 v1, v1, v3, v2
	v_lshlrev_b64 v[0:1], 4, v[0:1]
	v_add_co_u32_e32 v24, vcc, v38, v0
	v_addc_co_u32_e32 v25, vcc, v39, v1, vcc
	global_load_dwordx4 v[0:3], v[24:25], off
	v_mul_f64 v[4:5], v[26:27], -v[10:11]
	v_mul_f64 v[6:7], v[8:9], v[26:27]
	v_fmac_f64_e32 v[4:5], v[8:9], v[28:29]
	v_fmac_f64_e32 v[6:7], v[10:11], v[28:29]
                                        ; implicit-def: $vgpr26_vgpr27
                                        ; implicit-def: $vgpr28_vgpr29
	s_waitcnt vmcnt(0)
	v_fmac_f64_e32 v[4:5], v[12:13], v[0:1]
	v_fmac_f64_e32 v[6:7], v[14:15], v[0:1]
	v_fma_f64 v[4:5], -v[14:15], v[2:3], v[4:5]
	v_fmac_f64_e32 v[6:7], v[12:13], v[2:3]
	global_store_dwordx4 v[24:25], v[4:7], off
                                        ; implicit-def: $vgpr24
.LBB61_26:                              ;   in Loop: Header=BB61_11 Depth=1
	s_andn2_saveexec_b64 s[20:21], s[20:21]
	s_cbranch_execz .LBB61_10
; %bb.27:                               ;   in Loop: Header=BB61_11 Depth=1
	v_mul_f64 v[0:1], v[26:27], -v[10:11]
	v_mul_f64 v[2:3], v[8:9], v[26:27]
	v_fmac_f64_e32 v[0:1], v[8:9], v[28:29]
	v_fmac_f64_e32 v[2:3], v[10:11], v[28:29]
	s_mov_b64 s[20:21], -1
	s_and_b64 vcc, exec, s[28:29]
	s_cbranch_vccz .LBB61_29
; %bb.28:                               ;   in Loop: Header=BB61_11 Depth=1
	v_lshlrev_b64 v[4:5], 4, v[24:25]
	v_add_co_u32_e32 v4, vcc, v40, v4
	v_addc_co_u32_e32 v5, vcc, v41, v5, vcc
	global_store_dwordx4 v[4:5], v[0:3], off
	s_mov_b64 s[20:21], 0
.LBB61_29:                              ;   in Loop: Header=BB61_11 Depth=1
	s_andn2_b64 vcc, exec, s[20:21]
	s_cbranch_vccnz .LBB61_10
; %bb.30:                               ;   in Loop: Header=BB61_11 Depth=1
	v_mul_lo_u32 v6, v25, s26
	v_mul_lo_u32 v7, v24, s27
	v_mad_u64_u32 v[4:5], s[20:21], v24, s26, 0
	v_add3_u32 v5, v5, v7, v6
	v_lshlrev_b64 v[4:5], 4, v[4:5]
	v_add_co_u32_e32 v4, vcc, v38, v4
	v_addc_co_u32_e32 v5, vcc, v39, v5, vcc
	global_store_dwordx4 v[4:5], v[0:3], off
	s_branch .LBB61_10
.LBB61_31:
	s_endpgm
	.section	.rodata,"a",@progbits
	.p2align	6, 0x0
	.amdhsa_kernel _ZN9rocsparseL29bsrmmnt_small_blockdim_kernelILj64ELj8ELj2Eli21rocsparse_complex_numIdES2_S2_S2_EEv20rocsparse_direction_T3_S4_llNS_24const_host_device_scalarIT7_EEPKT2_PKS4_PKT4_PKT5_llS7_PT6_ll16rocsparse_order_21rocsparse_index_base_b
		.amdhsa_group_segment_fixed_size 3328
		.amdhsa_private_segment_fixed_size 24
		.amdhsa_kernarg_size 408
		.amdhsa_user_sgpr_count 8
		.amdhsa_user_sgpr_private_segment_buffer 1
		.amdhsa_user_sgpr_dispatch_ptr 0
		.amdhsa_user_sgpr_queue_ptr 0
		.amdhsa_user_sgpr_kernarg_segment_ptr 1
		.amdhsa_user_sgpr_dispatch_id 0
		.amdhsa_user_sgpr_flat_scratch_init 1
		.amdhsa_user_sgpr_kernarg_preload_length 0
		.amdhsa_user_sgpr_kernarg_preload_offset 0
		.amdhsa_user_sgpr_private_segment_size 0
		.amdhsa_uses_dynamic_stack 0
		.amdhsa_system_sgpr_private_segment_wavefront_offset 1
		.amdhsa_system_sgpr_workgroup_id_x 1
		.amdhsa_system_sgpr_workgroup_id_y 0
		.amdhsa_system_sgpr_workgroup_id_z 0
		.amdhsa_system_sgpr_workgroup_info 0
		.amdhsa_system_vgpr_workitem_id 0
		.amdhsa_next_free_vgpr 72
		.amdhsa_next_free_sgpr 34
		.amdhsa_accum_offset 72
		.amdhsa_reserve_vcc 1
		.amdhsa_reserve_flat_scratch 1
		.amdhsa_float_round_mode_32 0
		.amdhsa_float_round_mode_16_64 0
		.amdhsa_float_denorm_mode_32 3
		.amdhsa_float_denorm_mode_16_64 3
		.amdhsa_dx10_clamp 1
		.amdhsa_ieee_mode 1
		.amdhsa_fp16_overflow 0
		.amdhsa_tg_split 0
		.amdhsa_exception_fp_ieee_invalid_op 0
		.amdhsa_exception_fp_denorm_src 0
		.amdhsa_exception_fp_ieee_div_zero 0
		.amdhsa_exception_fp_ieee_overflow 0
		.amdhsa_exception_fp_ieee_underflow 0
		.amdhsa_exception_fp_ieee_inexact 0
		.amdhsa_exception_int_div_zero 0
	.end_amdhsa_kernel
	.section	.text._ZN9rocsparseL29bsrmmnt_small_blockdim_kernelILj64ELj8ELj2Eli21rocsparse_complex_numIdES2_S2_S2_EEv20rocsparse_direction_T3_S4_llNS_24const_host_device_scalarIT7_EEPKT2_PKS4_PKT4_PKT5_llS7_PT6_ll16rocsparse_order_21rocsparse_index_base_b,"axG",@progbits,_ZN9rocsparseL29bsrmmnt_small_blockdim_kernelILj64ELj8ELj2Eli21rocsparse_complex_numIdES2_S2_S2_EEv20rocsparse_direction_T3_S4_llNS_24const_host_device_scalarIT7_EEPKT2_PKS4_PKT4_PKT5_llS7_PT6_ll16rocsparse_order_21rocsparse_index_base_b,comdat
.Lfunc_end61:
	.size	_ZN9rocsparseL29bsrmmnt_small_blockdim_kernelILj64ELj8ELj2Eli21rocsparse_complex_numIdES2_S2_S2_EEv20rocsparse_direction_T3_S4_llNS_24const_host_device_scalarIT7_EEPKT2_PKS4_PKT4_PKT5_llS7_PT6_ll16rocsparse_order_21rocsparse_index_base_b, .Lfunc_end61-_ZN9rocsparseL29bsrmmnt_small_blockdim_kernelILj64ELj8ELj2Eli21rocsparse_complex_numIdES2_S2_S2_EEv20rocsparse_direction_T3_S4_llNS_24const_host_device_scalarIT7_EEPKT2_PKS4_PKT4_PKT5_llS7_PT6_ll16rocsparse_order_21rocsparse_index_base_b
                                        ; -- End function
	.section	.AMDGPU.csdata,"",@progbits
; Kernel info:
; codeLenInByte = 1884
; NumSgprs: 40
; NumVgprs: 72
; NumAgprs: 0
; TotalNumVgprs: 72
; ScratchSize: 24
; MemoryBound: 1
; FloatMode: 240
; IeeeMode: 1
; LDSByteSize: 3328 bytes/workgroup (compile time only)
; SGPRBlocks: 4
; VGPRBlocks: 8
; NumSGPRsForWavesPerEU: 40
; NumVGPRsForWavesPerEU: 72
; AccumOffset: 72
; Occupancy: 5
; WaveLimiterHint : 1
; COMPUTE_PGM_RSRC2:SCRATCH_EN: 1
; COMPUTE_PGM_RSRC2:USER_SGPR: 8
; COMPUTE_PGM_RSRC2:TRAP_HANDLER: 0
; COMPUTE_PGM_RSRC2:TGID_X_EN: 1
; COMPUTE_PGM_RSRC2:TGID_Y_EN: 0
; COMPUTE_PGM_RSRC2:TGID_Z_EN: 0
; COMPUTE_PGM_RSRC2:TIDIG_COMP_CNT: 0
; COMPUTE_PGM_RSRC3_GFX90A:ACCUM_OFFSET: 17
; COMPUTE_PGM_RSRC3_GFX90A:TG_SPLIT: 0
	.section	.text._ZN9rocsparseL29bsrmmnt_small_blockdim_kernelILj64ELj16ELj2Eli21rocsparse_complex_numIdES2_S2_S2_EEv20rocsparse_direction_T3_S4_llNS_24const_host_device_scalarIT7_EEPKT2_PKS4_PKT4_PKT5_llS7_PT6_ll16rocsparse_order_21rocsparse_index_base_b,"axG",@progbits,_ZN9rocsparseL29bsrmmnt_small_blockdim_kernelILj64ELj16ELj2Eli21rocsparse_complex_numIdES2_S2_S2_EEv20rocsparse_direction_T3_S4_llNS_24const_host_device_scalarIT7_EEPKT2_PKS4_PKT4_PKT5_llS7_PT6_ll16rocsparse_order_21rocsparse_index_base_b,comdat
	.globl	_ZN9rocsparseL29bsrmmnt_small_blockdim_kernelILj64ELj16ELj2Eli21rocsparse_complex_numIdES2_S2_S2_EEv20rocsparse_direction_T3_S4_llNS_24const_host_device_scalarIT7_EEPKT2_PKS4_PKT4_PKT5_llS7_PT6_ll16rocsparse_order_21rocsparse_index_base_b ; -- Begin function _ZN9rocsparseL29bsrmmnt_small_blockdim_kernelILj64ELj16ELj2Eli21rocsparse_complex_numIdES2_S2_S2_EEv20rocsparse_direction_T3_S4_llNS_24const_host_device_scalarIT7_EEPKT2_PKS4_PKT4_PKT5_llS7_PT6_ll16rocsparse_order_21rocsparse_index_base_b
	.p2align	8
	.type	_ZN9rocsparseL29bsrmmnt_small_blockdim_kernelILj64ELj16ELj2Eli21rocsparse_complex_numIdES2_S2_S2_EEv20rocsparse_direction_T3_S4_llNS_24const_host_device_scalarIT7_EEPKT2_PKS4_PKT4_PKT5_llS7_PT6_ll16rocsparse_order_21rocsparse_index_base_b,@function
_ZN9rocsparseL29bsrmmnt_small_blockdim_kernelILj64ELj16ELj2Eli21rocsparse_complex_numIdES2_S2_S2_EEv20rocsparse_direction_T3_S4_llNS_24const_host_device_scalarIT7_EEPKT2_PKS4_PKT4_PKT5_llS7_PT6_ll16rocsparse_order_21rocsparse_index_base_b: ; @_ZN9rocsparseL29bsrmmnt_small_blockdim_kernelILj64ELj16ELj2Eli21rocsparse_complex_numIdES2_S2_S2_EEv20rocsparse_direction_T3_S4_llNS_24const_host_device_scalarIT7_EEPKT2_PKS4_PKT4_PKT5_llS7_PT6_ll16rocsparse_order_21rocsparse_index_base_b
; %bb.0:
	s_add_u32 flat_scratch_lo, s6, s9
	s_load_dwordx4 s[16:19], s[4:5], 0x88
	s_load_dwordx4 s[20:23], s[4:5], 0x20
	s_addc_u32 flat_scratch_hi, s7, 0
	s_add_u32 s0, s0, s9
	s_load_dwordx4 s[12:15], s[4:5], 0x60
	s_addc_u32 s1, s1, 0
	s_waitcnt lgkmcnt(0)
	s_bitcmp1_b32 s18, 0
	v_mov_b32_e32 v1, 0
	v_mov_b32_e32 v3, s20
	s_cselect_b64 s[6:7], -1, 0
	v_cndmask_b32_e64 v2, v3, v1, s[6:7]
	v_mov_b32_e32 v1, s21
	s_mov_b64 s[10:11], src_private_base
	s_and_b64 vcc, s[6:7], exec
	buffer_store_dword v1, off, s[0:3], 0 offset:4
	buffer_store_dword v3, off, s[0:3], 0
	v_mov_b32_e32 v1, s13
	s_cselect_b32 s9, s11, s21
	buffer_store_dword v1, off, s[0:3], 0 offset:12
	v_mov_b32_e32 v1, s12
	buffer_store_dword v1, off, s[0:3], 0 offset:8
	v_mov_b32_e32 v3, s9
	flat_load_dwordx2 v[8:9], v[2:3]
	s_xor_b64 s[18:19], s[6:7], -1
	v_pk_mov_b32 v[10:11], s[22:23], s[22:23] op_sel:[0,1]
	s_cbranch_vccnz .LBB62_2
; %bb.1:
	v_pk_mov_b32 v[2:3], s[20:21], s[20:21] op_sel:[0,1]
	flat_load_dwordx2 v[10:11], v[2:3] offset:8
.LBB62_2:
	s_and_b64 s[20:21], s[6:7], exec
	s_cselect_b32 s9, s11, s13
	v_mov_b32_e32 v1, 8
	v_mov_b32_e32 v2, s12
	v_cndmask_b32_e64 v2, v2, v1, s[6:7]
	v_mov_b32_e32 v3, s9
	flat_load_dwordx2 v[12:13], v[2:3]
	s_andn2_b64 vcc, exec, s[18:19]
	v_pk_mov_b32 v[14:15], s[14:15], s[14:15] op_sel:[0,1]
	s_cbranch_vccnz .LBB62_4
; %bb.3:
	v_pk_mov_b32 v[2:3], s[12:13], s[12:13] op_sel:[0,1]
	flat_load_dwordx2 v[14:15], v[2:3] offset:8
.LBB62_4:
	s_waitcnt vmcnt(0) lgkmcnt(0)
	v_cmp_eq_f64_e32 vcc, 0, v[8:9]
	v_cmp_eq_f64_e64 s[6:7], 0, v[10:11]
	s_and_b64 s[12:13], vcc, s[6:7]
	s_mov_b64 s[6:7], -1
	s_and_saveexec_b64 s[10:11], s[12:13]
; %bb.5:
	v_cmp_neq_f64_e32 vcc, 1.0, v[12:13]
	v_cmp_neq_f64_e64 s[6:7], 0, v[14:15]
	s_or_b64 s[6:7], vcc, s[6:7]
	s_orn2_b64 s[6:7], s[6:7], exec
; %bb.6:
	s_or_b64 exec, exec, s[10:11]
	s_and_saveexec_b64 s[10:11], s[6:7]
	s_cbranch_execz .LBB62_31
; %bb.7:
	s_load_dword s6, s[4:5], 0xa4
	s_load_dwordx4 s[20:23], s[4:5], 0x0
	s_waitcnt lgkmcnt(0)
	s_and_b32 s6, s6, 0xffff
	s_mul_i32 s8, s8, s6
	v_add_u32_e32 v1, s8, v0
	v_lshrrev_b32_e32 v2, 5, v1
	v_cmp_gt_i32_e32 vcc, s21, v2
	s_and_b64 exec, exec, vcc
	s_cbranch_execz .LBB62_31
; %bb.8:
	s_cmp_lt_i32 s22, 1
	s_cbranch_scc1 .LBB62_31
; %bb.9:
	s_load_dwordx8 s[8:15], s[4:5], 0x30
	v_lshlrev_b32_e32 v2, 3, v2
	v_and_b32_e32 v16, 15, v0
	v_cmp_neq_f64_e32 vcc, 0, v[12:13]
	v_lshrrev_b32_e32 v7, 4, v1
	s_waitcnt lgkmcnt(0)
	global_load_dwordx4 v[2:5], v2, s[8:9]
	s_load_dwordx4 s[24:27], s[4:5], 0x70
	s_load_dwordx2 s[8:9], s[4:5], 0x50
	v_cmp_neq_f64_e64 s[4:5], 0, v[14:15]
	v_bfe_u32 v22, v1, 4, 1
	v_and_b32_e32 v18, -16, v1
	s_or_b64 s[18:19], vcc, s[4:5]
	v_mul_u32_u24_e32 v1, 3, v16
	v_lshrrev_b32_e32 v0, 4, v0
	v_mov_b32_e32 v6, 0xc00
	s_movk_i32 s6, 0x300
	s_cmp_lg_u32 s16, 1
	v_lshlrev_b32_e32 v1, 4, v1
	v_lshl_or_b32 v17, v0, 6, v6
	v_mul_u32_u24_e32 v23, 0x300, v0
	s_cselect_b64 s[28:29], -1, 0
	s_cmp_eq_u32 s20, 0
	v_mad_u32_u24 v37, v0, s6, v1
	s_waitcnt lgkmcnt(0)
	v_mad_u64_u32 v[0:1], s[6:7], v7, s26, 0
	s_cselect_b64 s[4:5], -1, 0
	v_mov_b32_e32 v6, v1
	v_cndmask_b32_e64 v24, 0, 1, s[4:5]
	s_and_b64 s[4:5], s[4:5], exec
	v_mad_u64_u32 v[6:7], s[4:5], v7, s27, v[6:7]
	v_mov_b32_e32 v19, s25
	v_add_co_u32_e32 v38, vcc, s24, v18
	v_mov_b32_e32 v1, v6
	v_addc_co_u32_e32 v39, vcc, 0, v19, vcc
	v_lshlrev_b64 v[0:1], 4, v[0:1]
	v_add_co_u32_e32 v40, vcc, s24, v0
	v_addc_co_u32_e32 v41, vcc, v19, v1, vcc
	s_mov_b32 s23, 0
	v_lshl_or_b32 v36, v16, 2, v17
	s_cselect_b32 s16, 1, 2
	v_lshlrev_b32_e32 v22, v24, v22
	s_waitcnt vmcnt(0)
	v_subrev_co_u32_e32 v18, vcc, s17, v2
	v_subbrev_co_u32_e32 v19, vcc, 0, v3, vcc
	v_subrev_co_u32_e32 v20, vcc, s17, v4
	v_subbrev_co_u32_e32 v21, vcc, 0, v5, vcc
	v_cmp_lt_i64_e64 s[4:5], v[2:3], v[4:5]
	s_branch .LBB62_11
.LBB62_10:                              ;   in Loop: Header=BB62_11 Depth=1
	s_or_b64 exec, exec, s[6:7]
	s_add_i32 s23, s23, 16
	s_cmp_lt_i32 s23, s22
	s_cbranch_scc0 .LBB62_31
.LBB62_11:                              ; =>This Loop Header: Depth=1
                                        ;     Child Loop BB62_14 Depth 2
                                        ;       Child Loop BB62_18 Depth 3
	v_or_b32_e32 v24, s23, v16
	v_pk_mov_b32 v[26:27], 0, 0
	v_ashrrev_i32_e32 v25, 31, v24
	v_pk_mov_b32 v[28:29], v[26:27], v[26:27] op_sel:[0,1]
	s_and_saveexec_b64 s[20:21], s[4:5]
	s_cbranch_execz .LBB62_20
; %bb.12:                               ;   in Loop: Header=BB62_11 Depth=1
	v_lshlrev_b64 v[0:1], 4, v[24:25]
	v_mov_b32_e32 v2, s15
	v_add_co_u32_e64 v42, s[6:7], s14, v0
	v_pk_mov_b32 v[30:31], 0, 0
	v_cmp_gt_i32_e32 vcc, s22, v24
	v_addc_co_u32_e64 v43, s[6:7], v2, v1, s[6:7]
	s_mov_b64 s[24:25], 0
	v_pk_mov_b32 v[32:33], v[18:19], v[18:19] op_sel:[0,1]
	v_pk_mov_b32 v[26:27], v[30:31], v[30:31] op_sel:[0,1]
	;; [unrolled: 1-line block ×3, first 2 shown]
	s_branch .LBB62_14
.LBB62_13:                              ;   in Loop: Header=BB62_14 Depth=2
	s_or_b64 exec, exec, s[30:31]
	v_add_co_u32_e64 v32, s[6:7], 16, v32
	v_addc_co_u32_e64 v33, s[6:7], 0, v33, s[6:7]
	v_cmp_ge_i64_e64 s[6:7], v[32:33], v[20:21]
	s_or_b64 s[24:25], s[6:7], s[24:25]
	s_andn2_b64 exec, exec, s[24:25]
	s_cbranch_execz .LBB62_19
.LBB62_14:                              ;   Parent Loop BB62_11 Depth=1
                                        ; =>  This Loop Header: Depth=2
                                        ;       Child Loop BB62_18 Depth 3
	v_add_co_u32_e64 v34, s[6:7], v32, v16
	v_addc_co_u32_e64 v35, s[6:7], 0, v33, s[6:7]
	v_cmp_lt_i64_e64 s[6:7], v[34:35], v[20:21]
	v_mov_b32_e32 v44, 0
	v_pk_mov_b32 v[4:5], v[30:31], v[30:31] op_sel:[0,1]
	v_pk_mov_b32 v[6:7], v[30:31], v[30:31] op_sel:[0,1]
	;; [unrolled: 1-line block ×4, first 2 shown]
	s_and_saveexec_b64 s[30:31], s[6:7]
	s_cbranch_execz .LBB62_16
; %bb.15:                               ;   in Loop: Header=BB62_14 Depth=2
	v_lshlrev_b64 v[0:1], 2, v[34:35]
	v_mov_b32_e32 v3, s11
	v_add_co_u32_e64 v2, s[6:7], s10, v0
	v_addc_co_u32_e64 v3, s[6:7], v3, v1, s[6:7]
	v_or_b32_e32 v1, 0, v1
	v_or_b32_e32 v0, v0, v22
	global_load_dword v46, v[2:3], off
	v_lshlrev_b64 v[2:3], 4, v[0:1]
	v_mov_b32_e32 v4, s13
	v_add_co_u32_e64 v34, s[6:7], s12, v2
	v_or_b32_e32 v1, 0, v1
	v_or_b32_e32 v0, s16, v0
	v_addc_co_u32_e64 v35, s[6:7], v4, v3, s[6:7]
	v_lshlrev_b64 v[0:1], 4, v[0:1]
	v_add_co_u32_e64 v44, s[6:7], s12, v0
	v_addc_co_u32_e64 v45, s[6:7], v4, v1, s[6:7]
	global_load_dwordx4 v[4:7], v[34:35], off
	global_load_dwordx4 v[0:3], v[44:45], off
	s_waitcnt vmcnt(2)
	v_subrev_u32_e32 v34, s17, v46
	v_lshlrev_b32_e32 v44, 1, v34
.LBB62_16:                              ;   in Loop: Header=BB62_14 Depth=2
	s_or_b64 exec, exec, s[30:31]
	ds_write_b32 v36, v44
	s_waitcnt vmcnt(1)
	ds_write_b128 v37, v[4:7]
	s_waitcnt vmcnt(0)
	ds_write_b128 v37, v[0:3] offset:16
	s_waitcnt lgkmcnt(0)
	; wave barrier
	s_waitcnt lgkmcnt(0)
	s_and_saveexec_b64 s[30:31], vcc
	s_cbranch_execz .LBB62_13
; %bb.17:                               ;   in Loop: Header=BB62_14 Depth=2
	s_mov_b32 s33, 0
	v_mov_b32_e32 v0, v23
.LBB62_18:                              ;   Parent Loop BB62_11 Depth=1
                                        ;     Parent Loop BB62_14 Depth=2
                                        ; =>    This Inner Loop Header: Depth=3
	v_add_u32_e32 v1, s33, v17
	ds_read_b64 v[2:3], v1
	s_add_i32 s33, s33, 8
	s_cmp_lg_u32 s33, 64
	s_waitcnt lgkmcnt(0)
	v_ashrrev_i32_e32 v1, 31, v2
	v_mul_lo_u32 v44, v2, s9
	v_mad_u64_u32 v[4:5], s[6:7], v2, s8, 0
	v_mul_lo_u32 v1, v1, s8
	v_add_u32_e32 v2, 1, v2
	v_ashrrev_i32_e32 v34, 31, v3
	v_add_u32_e32 v35, 1, v3
	v_add3_u32 v5, v5, v44, v1
	v_mul_lo_u32 v45, v3, s9
	v_mad_u64_u32 v[6:7], s[6:7], v3, s8, 0
	v_ashrrev_i32_e32 v46, 31, v2
	v_mul_lo_u32 v47, v2, s9
	v_mad_u64_u32 v[2:3], s[6:7], v2, s8, 0
	v_mul_lo_u32 v48, v34, s8
	v_ashrrev_i32_e32 v49, 31, v35
	v_mul_lo_u32 v50, v35, s9
	v_mad_u64_u32 v[34:35], s[6:7], v35, s8, 0
	v_lshlrev_b64 v[4:5], 4, v[4:5]
	v_add3_u32 v7, v7, v45, v48
	v_add_co_u32_e64 v48, s[6:7], v42, v4
	v_mul_lo_u32 v1, v46, s8
	v_mul_lo_u32 v44, v49, s8
	v_lshlrev_b64 v[6:7], 4, v[6:7]
	v_addc_co_u32_e64 v49, s[6:7], v43, v5, s[6:7]
	v_add3_u32 v3, v3, v47, v1
	v_add_co_u32_e64 v6, s[6:7], v42, v6
	v_lshlrev_b64 v[2:3], 4, v[2:3]
	v_addc_co_u32_e64 v7, s[6:7], v43, v7, s[6:7]
	v_add3_u32 v35, v35, v50, v44
	v_add_co_u32_e64 v50, s[6:7], v42, v2
	v_addc_co_u32_e64 v51, s[6:7], v43, v3, s[6:7]
	global_load_dwordx4 v[2:5], v[48:49], off
	global_load_dwordx4 v[44:47], v[6:7], off
	v_lshlrev_b64 v[34:35], 4, v[34:35]
	global_load_dwordx4 v[48:51], v[50:51], off
	v_add_co_u32_e64 v6, s[6:7], v42, v34
	v_addc_co_u32_e64 v7, s[6:7], v43, v35, s[6:7]
	global_load_dwordx4 v[52:55], v[6:7], off
	ds_read_b128 v[56:59], v0
	ds_read_b128 v[60:63], v0 offset:16
	ds_read_b128 v[64:67], v0 offset:48
	;; [unrolled: 1-line block ×3, first 2 shown]
	v_add_u32_e32 v0, 0x60, v0
	s_waitcnt vmcnt(3) lgkmcnt(3)
	v_fmac_f64_e32 v[28:29], v[56:57], v[2:3]
	v_fmac_f64_e32 v[26:27], v[58:59], v[2:3]
	v_fma_f64 v[2:3], -v[58:59], v[4:5], v[28:29]
	v_fmac_f64_e32 v[26:27], v[56:57], v[4:5]
	s_waitcnt vmcnt(1) lgkmcnt(2)
	v_fmac_f64_e32 v[2:3], v[60:61], v[48:49]
	v_fmac_f64_e32 v[26:27], v[62:63], v[48:49]
	v_fma_f64 v[2:3], -v[62:63], v[50:51], v[2:3]
	v_fmac_f64_e32 v[26:27], v[60:61], v[50:51]
	s_waitcnt lgkmcnt(1)
	v_fmac_f64_e32 v[2:3], v[64:65], v[44:45]
	v_fmac_f64_e32 v[26:27], v[66:67], v[44:45]
	v_fma_f64 v[2:3], -v[66:67], v[46:47], v[2:3]
	v_fmac_f64_e32 v[26:27], v[64:65], v[46:47]
	s_waitcnt vmcnt(0) lgkmcnt(0)
	v_fmac_f64_e32 v[2:3], v[68:69], v[52:53]
	v_fmac_f64_e32 v[26:27], v[70:71], v[52:53]
	v_fma_f64 v[28:29], -v[70:71], v[54:55], v[2:3]
	v_fmac_f64_e32 v[26:27], v[68:69], v[54:55]
	s_cbranch_scc1 .LBB62_18
	s_branch .LBB62_13
.LBB62_19:                              ;   in Loop: Header=BB62_11 Depth=1
	s_or_b64 exec, exec, s[24:25]
.LBB62_20:                              ;   in Loop: Header=BB62_11 Depth=1
	s_or_b64 exec, exec, s[20:21]
	v_cmp_gt_i32_e32 vcc, s22, v24
	s_and_saveexec_b64 s[6:7], vcc
	s_cbranch_execz .LBB62_10
; %bb.21:                               ;   in Loop: Header=BB62_11 Depth=1
	s_and_saveexec_b64 s[20:21], s[18:19]
	s_xor_b64 s[20:21], exec, s[20:21]
	s_cbranch_execz .LBB62_26
; %bb.22:                               ;   in Loop: Header=BB62_11 Depth=1
	s_mov_b64 s[24:25], -1
	s_and_b64 vcc, exec, s[28:29]
	s_cbranch_vccz .LBB62_24
; %bb.23:                               ;   in Loop: Header=BB62_11 Depth=1
	v_lshlrev_b64 v[0:1], 4, v[24:25]
	v_add_co_u32_e32 v30, vcc, v40, v0
	v_addc_co_u32_e32 v31, vcc, v41, v1, vcc
	global_load_dwordx4 v[0:3], v[30:31], off
	v_mul_f64 v[4:5], v[26:27], -v[10:11]
	v_mul_f64 v[6:7], v[8:9], v[26:27]
	v_fmac_f64_e32 v[4:5], v[8:9], v[28:29]
	v_fmac_f64_e32 v[6:7], v[10:11], v[28:29]
	s_mov_b64 s[24:25], 0
	s_waitcnt vmcnt(0)
	v_fmac_f64_e32 v[4:5], v[12:13], v[0:1]
	v_fmac_f64_e32 v[6:7], v[14:15], v[0:1]
	v_fma_f64 v[4:5], -v[14:15], v[2:3], v[4:5]
	v_fmac_f64_e32 v[6:7], v[12:13], v[2:3]
	global_store_dwordx4 v[30:31], v[4:7], off
.LBB62_24:                              ;   in Loop: Header=BB62_11 Depth=1
	s_andn2_b64 vcc, exec, s[24:25]
	s_cbranch_vccnz .LBB62_26
; %bb.25:                               ;   in Loop: Header=BB62_11 Depth=1
	v_mul_lo_u32 v2, v25, s26
	v_mul_lo_u32 v3, v24, s27
	v_mad_u64_u32 v[0:1], s[24:25], v24, s26, 0
	v_add3_u32 v1, v1, v3, v2
	v_lshlrev_b64 v[0:1], 4, v[0:1]
	v_add_co_u32_e32 v24, vcc, v38, v0
	v_addc_co_u32_e32 v25, vcc, v39, v1, vcc
	global_load_dwordx4 v[0:3], v[24:25], off
	v_mul_f64 v[4:5], v[26:27], -v[10:11]
	v_mul_f64 v[6:7], v[8:9], v[26:27]
	v_fmac_f64_e32 v[4:5], v[8:9], v[28:29]
	v_fmac_f64_e32 v[6:7], v[10:11], v[28:29]
                                        ; implicit-def: $vgpr26_vgpr27
                                        ; implicit-def: $vgpr28_vgpr29
	s_waitcnt vmcnt(0)
	v_fmac_f64_e32 v[4:5], v[12:13], v[0:1]
	v_fmac_f64_e32 v[6:7], v[14:15], v[0:1]
	v_fma_f64 v[4:5], -v[14:15], v[2:3], v[4:5]
	v_fmac_f64_e32 v[6:7], v[12:13], v[2:3]
	global_store_dwordx4 v[24:25], v[4:7], off
                                        ; implicit-def: $vgpr24
.LBB62_26:                              ;   in Loop: Header=BB62_11 Depth=1
	s_andn2_saveexec_b64 s[20:21], s[20:21]
	s_cbranch_execz .LBB62_10
; %bb.27:                               ;   in Loop: Header=BB62_11 Depth=1
	v_mul_f64 v[0:1], v[26:27], -v[10:11]
	v_mul_f64 v[2:3], v[8:9], v[26:27]
	v_fmac_f64_e32 v[0:1], v[8:9], v[28:29]
	v_fmac_f64_e32 v[2:3], v[10:11], v[28:29]
	s_mov_b64 s[20:21], -1
	s_and_b64 vcc, exec, s[28:29]
	s_cbranch_vccz .LBB62_29
; %bb.28:                               ;   in Loop: Header=BB62_11 Depth=1
	v_lshlrev_b64 v[4:5], 4, v[24:25]
	v_add_co_u32_e32 v4, vcc, v40, v4
	v_addc_co_u32_e32 v5, vcc, v41, v5, vcc
	global_store_dwordx4 v[4:5], v[0:3], off
	s_mov_b64 s[20:21], 0
.LBB62_29:                              ;   in Loop: Header=BB62_11 Depth=1
	s_andn2_b64 vcc, exec, s[20:21]
	s_cbranch_vccnz .LBB62_10
; %bb.30:                               ;   in Loop: Header=BB62_11 Depth=1
	v_mul_lo_u32 v6, v25, s26
	v_mul_lo_u32 v7, v24, s27
	v_mad_u64_u32 v[4:5], s[20:21], v24, s26, 0
	v_add3_u32 v5, v5, v7, v6
	v_lshlrev_b64 v[4:5], 4, v[4:5]
	v_add_co_u32_e32 v4, vcc, v38, v4
	v_addc_co_u32_e32 v5, vcc, v39, v5, vcc
	global_store_dwordx4 v[4:5], v[0:3], off
	s_branch .LBB62_10
.LBB62_31:
	s_endpgm
	.section	.rodata,"a",@progbits
	.p2align	6, 0x0
	.amdhsa_kernel _ZN9rocsparseL29bsrmmnt_small_blockdim_kernelILj64ELj16ELj2Eli21rocsparse_complex_numIdES2_S2_S2_EEv20rocsparse_direction_T3_S4_llNS_24const_host_device_scalarIT7_EEPKT2_PKS4_PKT4_PKT5_llS7_PT6_ll16rocsparse_order_21rocsparse_index_base_b
		.amdhsa_group_segment_fixed_size 3328
		.amdhsa_private_segment_fixed_size 24
		.amdhsa_kernarg_size 408
		.amdhsa_user_sgpr_count 8
		.amdhsa_user_sgpr_private_segment_buffer 1
		.amdhsa_user_sgpr_dispatch_ptr 0
		.amdhsa_user_sgpr_queue_ptr 0
		.amdhsa_user_sgpr_kernarg_segment_ptr 1
		.amdhsa_user_sgpr_dispatch_id 0
		.amdhsa_user_sgpr_flat_scratch_init 1
		.amdhsa_user_sgpr_kernarg_preload_length 0
		.amdhsa_user_sgpr_kernarg_preload_offset 0
		.amdhsa_user_sgpr_private_segment_size 0
		.amdhsa_uses_dynamic_stack 0
		.amdhsa_system_sgpr_private_segment_wavefront_offset 1
		.amdhsa_system_sgpr_workgroup_id_x 1
		.amdhsa_system_sgpr_workgroup_id_y 0
		.amdhsa_system_sgpr_workgroup_id_z 0
		.amdhsa_system_sgpr_workgroup_info 0
		.amdhsa_system_vgpr_workitem_id 0
		.amdhsa_next_free_vgpr 72
		.amdhsa_next_free_sgpr 34
		.amdhsa_accum_offset 72
		.amdhsa_reserve_vcc 1
		.amdhsa_reserve_flat_scratch 1
		.amdhsa_float_round_mode_32 0
		.amdhsa_float_round_mode_16_64 0
		.amdhsa_float_denorm_mode_32 3
		.amdhsa_float_denorm_mode_16_64 3
		.amdhsa_dx10_clamp 1
		.amdhsa_ieee_mode 1
		.amdhsa_fp16_overflow 0
		.amdhsa_tg_split 0
		.amdhsa_exception_fp_ieee_invalid_op 0
		.amdhsa_exception_fp_denorm_src 0
		.amdhsa_exception_fp_ieee_div_zero 0
		.amdhsa_exception_fp_ieee_overflow 0
		.amdhsa_exception_fp_ieee_underflow 0
		.amdhsa_exception_fp_ieee_inexact 0
		.amdhsa_exception_int_div_zero 0
	.end_amdhsa_kernel
	.section	.text._ZN9rocsparseL29bsrmmnt_small_blockdim_kernelILj64ELj16ELj2Eli21rocsparse_complex_numIdES2_S2_S2_EEv20rocsparse_direction_T3_S4_llNS_24const_host_device_scalarIT7_EEPKT2_PKS4_PKT4_PKT5_llS7_PT6_ll16rocsparse_order_21rocsparse_index_base_b,"axG",@progbits,_ZN9rocsparseL29bsrmmnt_small_blockdim_kernelILj64ELj16ELj2Eli21rocsparse_complex_numIdES2_S2_S2_EEv20rocsparse_direction_T3_S4_llNS_24const_host_device_scalarIT7_EEPKT2_PKS4_PKT4_PKT5_llS7_PT6_ll16rocsparse_order_21rocsparse_index_base_b,comdat
.Lfunc_end62:
	.size	_ZN9rocsparseL29bsrmmnt_small_blockdim_kernelILj64ELj16ELj2Eli21rocsparse_complex_numIdES2_S2_S2_EEv20rocsparse_direction_T3_S4_llNS_24const_host_device_scalarIT7_EEPKT2_PKS4_PKT4_PKT5_llS7_PT6_ll16rocsparse_order_21rocsparse_index_base_b, .Lfunc_end62-_ZN9rocsparseL29bsrmmnt_small_blockdim_kernelILj64ELj16ELj2Eli21rocsparse_complex_numIdES2_S2_S2_EEv20rocsparse_direction_T3_S4_llNS_24const_host_device_scalarIT7_EEPKT2_PKS4_PKT4_PKT5_llS7_PT6_ll16rocsparse_order_21rocsparse_index_base_b
                                        ; -- End function
	.section	.AMDGPU.csdata,"",@progbits
; Kernel info:
; codeLenInByte = 1876
; NumSgprs: 40
; NumVgprs: 72
; NumAgprs: 0
; TotalNumVgprs: 72
; ScratchSize: 24
; MemoryBound: 1
; FloatMode: 240
; IeeeMode: 1
; LDSByteSize: 3328 bytes/workgroup (compile time only)
; SGPRBlocks: 4
; VGPRBlocks: 8
; NumSGPRsForWavesPerEU: 40
; NumVGPRsForWavesPerEU: 72
; AccumOffset: 72
; Occupancy: 5
; WaveLimiterHint : 1
; COMPUTE_PGM_RSRC2:SCRATCH_EN: 1
; COMPUTE_PGM_RSRC2:USER_SGPR: 8
; COMPUTE_PGM_RSRC2:TRAP_HANDLER: 0
; COMPUTE_PGM_RSRC2:TGID_X_EN: 1
; COMPUTE_PGM_RSRC2:TGID_Y_EN: 0
; COMPUTE_PGM_RSRC2:TGID_Z_EN: 0
; COMPUTE_PGM_RSRC2:TIDIG_COMP_CNT: 0
; COMPUTE_PGM_RSRC3_GFX90A:ACCUM_OFFSET: 17
; COMPUTE_PGM_RSRC3_GFX90A:TG_SPLIT: 0
	.section	.text._ZN9rocsparseL29bsrmmnt_small_blockdim_kernelILj64ELj32ELj2Eli21rocsparse_complex_numIdES2_S2_S2_EEv20rocsparse_direction_T3_S4_llNS_24const_host_device_scalarIT7_EEPKT2_PKS4_PKT4_PKT5_llS7_PT6_ll16rocsparse_order_21rocsparse_index_base_b,"axG",@progbits,_ZN9rocsparseL29bsrmmnt_small_blockdim_kernelILj64ELj32ELj2Eli21rocsparse_complex_numIdES2_S2_S2_EEv20rocsparse_direction_T3_S4_llNS_24const_host_device_scalarIT7_EEPKT2_PKS4_PKT4_PKT5_llS7_PT6_ll16rocsparse_order_21rocsparse_index_base_b,comdat
	.globl	_ZN9rocsparseL29bsrmmnt_small_blockdim_kernelILj64ELj32ELj2Eli21rocsparse_complex_numIdES2_S2_S2_EEv20rocsparse_direction_T3_S4_llNS_24const_host_device_scalarIT7_EEPKT2_PKS4_PKT4_PKT5_llS7_PT6_ll16rocsparse_order_21rocsparse_index_base_b ; -- Begin function _ZN9rocsparseL29bsrmmnt_small_blockdim_kernelILj64ELj32ELj2Eli21rocsparse_complex_numIdES2_S2_S2_EEv20rocsparse_direction_T3_S4_llNS_24const_host_device_scalarIT7_EEPKT2_PKS4_PKT4_PKT5_llS7_PT6_ll16rocsparse_order_21rocsparse_index_base_b
	.p2align	8
	.type	_ZN9rocsparseL29bsrmmnt_small_blockdim_kernelILj64ELj32ELj2Eli21rocsparse_complex_numIdES2_S2_S2_EEv20rocsparse_direction_T3_S4_llNS_24const_host_device_scalarIT7_EEPKT2_PKS4_PKT4_PKT5_llS7_PT6_ll16rocsparse_order_21rocsparse_index_base_b,@function
_ZN9rocsparseL29bsrmmnt_small_blockdim_kernelILj64ELj32ELj2Eli21rocsparse_complex_numIdES2_S2_S2_EEv20rocsparse_direction_T3_S4_llNS_24const_host_device_scalarIT7_EEPKT2_PKS4_PKT4_PKT5_llS7_PT6_ll16rocsparse_order_21rocsparse_index_base_b: ; @_ZN9rocsparseL29bsrmmnt_small_blockdim_kernelILj64ELj32ELj2Eli21rocsparse_complex_numIdES2_S2_S2_EEv20rocsparse_direction_T3_S4_llNS_24const_host_device_scalarIT7_EEPKT2_PKS4_PKT4_PKT5_llS7_PT6_ll16rocsparse_order_21rocsparse_index_base_b
; %bb.0:
	s_add_u32 flat_scratch_lo, s6, s9
	s_load_dwordx4 s[16:19], s[4:5], 0x88
	s_load_dwordx4 s[20:23], s[4:5], 0x20
	s_addc_u32 flat_scratch_hi, s7, 0
	s_add_u32 s0, s0, s9
	s_load_dwordx4 s[12:15], s[4:5], 0x60
	s_addc_u32 s1, s1, 0
	s_waitcnt lgkmcnt(0)
	s_bitcmp1_b32 s18, 0
	v_mov_b32_e32 v1, 0
	v_mov_b32_e32 v3, s20
	s_cselect_b64 s[6:7], -1, 0
	v_cndmask_b32_e64 v2, v3, v1, s[6:7]
	v_mov_b32_e32 v1, s21
	s_mov_b64 s[10:11], src_private_base
	s_and_b64 vcc, s[6:7], exec
	buffer_store_dword v1, off, s[0:3], 0 offset:4
	buffer_store_dword v3, off, s[0:3], 0
	v_mov_b32_e32 v1, s13
	s_cselect_b32 s9, s11, s21
	buffer_store_dword v1, off, s[0:3], 0 offset:12
	v_mov_b32_e32 v1, s12
	buffer_store_dword v1, off, s[0:3], 0 offset:8
	v_mov_b32_e32 v3, s9
	flat_load_dwordx2 v[8:9], v[2:3]
	s_xor_b64 s[18:19], s[6:7], -1
	v_pk_mov_b32 v[10:11], s[22:23], s[22:23] op_sel:[0,1]
	s_cbranch_vccnz .LBB63_2
; %bb.1:
	v_pk_mov_b32 v[2:3], s[20:21], s[20:21] op_sel:[0,1]
	flat_load_dwordx2 v[10:11], v[2:3] offset:8
.LBB63_2:
	s_and_b64 s[20:21], s[6:7], exec
	s_cselect_b32 s9, s11, s13
	v_mov_b32_e32 v1, 8
	v_mov_b32_e32 v2, s12
	v_cndmask_b32_e64 v2, v2, v1, s[6:7]
	v_mov_b32_e32 v3, s9
	flat_load_dwordx2 v[12:13], v[2:3]
	s_andn2_b64 vcc, exec, s[18:19]
	v_pk_mov_b32 v[14:15], s[14:15], s[14:15] op_sel:[0,1]
	s_cbranch_vccnz .LBB63_4
; %bb.3:
	v_pk_mov_b32 v[2:3], s[12:13], s[12:13] op_sel:[0,1]
	flat_load_dwordx2 v[14:15], v[2:3] offset:8
.LBB63_4:
	s_waitcnt vmcnt(0) lgkmcnt(0)
	v_cmp_eq_f64_e32 vcc, 0, v[8:9]
	v_cmp_eq_f64_e64 s[6:7], 0, v[10:11]
	s_and_b64 s[12:13], vcc, s[6:7]
	s_mov_b64 s[6:7], -1
	s_and_saveexec_b64 s[10:11], s[12:13]
; %bb.5:
	v_cmp_neq_f64_e32 vcc, 1.0, v[12:13]
	v_cmp_neq_f64_e64 s[6:7], 0, v[14:15]
	s_or_b64 s[6:7], vcc, s[6:7]
	s_orn2_b64 s[6:7], s[6:7], exec
; %bb.6:
	s_or_b64 exec, exec, s[10:11]
	s_and_saveexec_b64 s[10:11], s[6:7]
	s_cbranch_execz .LBB63_31
; %bb.7:
	s_load_dword s6, s[4:5], 0xa4
	s_load_dwordx4 s[20:23], s[4:5], 0x0
	s_waitcnt lgkmcnt(0)
	s_and_b32 s6, s6, 0xffff
	s_mul_i32 s8, s8, s6
	v_add_u32_e32 v1, s8, v0
	v_lshrrev_b32_e32 v2, 6, v1
	v_cmp_gt_i32_e32 vcc, s21, v2
	s_and_b64 exec, exec, vcc
	s_cbranch_execz .LBB63_31
; %bb.8:
	s_cmp_lt_i32 s22, 1
	s_cbranch_scc1 .LBB63_31
; %bb.9:
	s_load_dwordx8 s[8:15], s[4:5], 0x30
	v_lshlrev_b32_e32 v2, 3, v2
	v_lshrrev_b32_e32 v7, 5, v1
	v_bfe_u32 v22, v1, 5, 1
	v_and_b32_e32 v16, 31, v0
	s_waitcnt lgkmcnt(0)
	global_load_dwordx4 v[2:5], v2, s[8:9]
	s_load_dwordx4 s[24:27], s[4:5], 0x70
	s_load_dwordx2 s[8:9], s[4:5], 0x50
	v_lshrrev_b32_e32 v0, 5, v0
	v_mov_b32_e32 v1, 0xc00
	v_cmp_neq_f64_e32 vcc, 0, v[12:13]
	v_cmp_neq_f64_e64 s[4:5], 0, v[14:15]
	v_lshl_or_b32 v17, v0, 7, v1
	s_or_b64 s[18:19], vcc, s[4:5]
	v_mul_u32_u24_e32 v1, 3, v16
	s_movk_i32 s6, 0x600
	s_cmp_lg_u32 s16, 1
	v_lshlrev_b32_e32 v1, 4, v1
	v_mul_u32_u24_e32 v23, 0x600, v0
	s_cselect_b64 s[28:29], -1, 0
	s_cmp_eq_u32 s20, 0
	v_mad_u32_u24 v37, v0, s6, v1
	s_waitcnt lgkmcnt(0)
	v_mad_u64_u32 v[0:1], s[6:7], v7, s26, 0
	s_cselect_b64 s[4:5], -1, 0
	v_mov_b32_e32 v6, v1
	v_lshlrev_b32_e32 v18, 4, v7
	v_cndmask_b32_e64 v24, 0, 1, s[4:5]
	s_and_b64 s[4:5], s[4:5], exec
	v_mad_u64_u32 v[6:7], s[4:5], v7, s27, v[6:7]
	v_mov_b32_e32 v19, s25
	v_add_co_u32_e32 v38, vcc, s24, v18
	v_mov_b32_e32 v1, v6
	v_addc_co_u32_e32 v39, vcc, 0, v19, vcc
	v_lshlrev_b64 v[0:1], 4, v[0:1]
	v_add_co_u32_e32 v40, vcc, s24, v0
	v_addc_co_u32_e32 v41, vcc, v19, v1, vcc
	s_mov_b32 s23, 0
	v_lshl_or_b32 v36, v16, 2, v17
	s_cselect_b32 s16, 1, 2
	v_lshlrev_b32_e32 v22, v24, v22
	s_waitcnt vmcnt(0)
	v_subrev_co_u32_e32 v18, vcc, s17, v2
	v_subbrev_co_u32_e32 v19, vcc, 0, v3, vcc
	v_subrev_co_u32_e32 v20, vcc, s17, v4
	v_subbrev_co_u32_e32 v21, vcc, 0, v5, vcc
	v_cmp_lt_i64_e64 s[4:5], v[2:3], v[4:5]
	s_branch .LBB63_11
.LBB63_10:                              ;   in Loop: Header=BB63_11 Depth=1
	s_or_b64 exec, exec, s[6:7]
	s_add_i32 s23, s23, 32
	s_cmp_lt_i32 s23, s22
	s_cbranch_scc0 .LBB63_31
.LBB63_11:                              ; =>This Loop Header: Depth=1
                                        ;     Child Loop BB63_14 Depth 2
                                        ;       Child Loop BB63_18 Depth 3
	v_or_b32_e32 v24, s23, v16
	v_pk_mov_b32 v[26:27], 0, 0
	v_ashrrev_i32_e32 v25, 31, v24
	v_pk_mov_b32 v[28:29], v[26:27], v[26:27] op_sel:[0,1]
	s_and_saveexec_b64 s[20:21], s[4:5]
	s_cbranch_execz .LBB63_20
; %bb.12:                               ;   in Loop: Header=BB63_11 Depth=1
	v_lshlrev_b64 v[0:1], 4, v[24:25]
	v_mov_b32_e32 v2, s15
	v_add_co_u32_e64 v42, s[6:7], s14, v0
	v_pk_mov_b32 v[30:31], 0, 0
	v_cmp_gt_i32_e32 vcc, s22, v24
	v_addc_co_u32_e64 v43, s[6:7], v2, v1, s[6:7]
	s_mov_b64 s[24:25], 0
	v_pk_mov_b32 v[32:33], v[18:19], v[18:19] op_sel:[0,1]
	v_pk_mov_b32 v[26:27], v[30:31], v[30:31] op_sel:[0,1]
	;; [unrolled: 1-line block ×3, first 2 shown]
	s_branch .LBB63_14
.LBB63_13:                              ;   in Loop: Header=BB63_14 Depth=2
	s_or_b64 exec, exec, s[30:31]
	v_add_co_u32_e64 v32, s[6:7], 32, v32
	v_addc_co_u32_e64 v33, s[6:7], 0, v33, s[6:7]
	v_cmp_ge_i64_e64 s[6:7], v[32:33], v[20:21]
	s_or_b64 s[24:25], s[6:7], s[24:25]
	s_andn2_b64 exec, exec, s[24:25]
	s_cbranch_execz .LBB63_19
.LBB63_14:                              ;   Parent Loop BB63_11 Depth=1
                                        ; =>  This Loop Header: Depth=2
                                        ;       Child Loop BB63_18 Depth 3
	v_add_co_u32_e64 v34, s[6:7], v32, v16
	v_addc_co_u32_e64 v35, s[6:7], 0, v33, s[6:7]
	v_cmp_lt_i64_e64 s[6:7], v[34:35], v[20:21]
	v_mov_b32_e32 v44, 0
	v_pk_mov_b32 v[4:5], v[30:31], v[30:31] op_sel:[0,1]
	v_pk_mov_b32 v[6:7], v[30:31], v[30:31] op_sel:[0,1]
	;; [unrolled: 1-line block ×4, first 2 shown]
	s_and_saveexec_b64 s[30:31], s[6:7]
	s_cbranch_execz .LBB63_16
; %bb.15:                               ;   in Loop: Header=BB63_14 Depth=2
	v_lshlrev_b64 v[0:1], 2, v[34:35]
	v_mov_b32_e32 v3, s11
	v_add_co_u32_e64 v2, s[6:7], s10, v0
	v_addc_co_u32_e64 v3, s[6:7], v3, v1, s[6:7]
	v_or_b32_e32 v1, 0, v1
	v_or_b32_e32 v0, v0, v22
	global_load_dword v46, v[2:3], off
	v_lshlrev_b64 v[2:3], 4, v[0:1]
	v_mov_b32_e32 v4, s13
	v_add_co_u32_e64 v34, s[6:7], s12, v2
	v_or_b32_e32 v1, 0, v1
	v_or_b32_e32 v0, s16, v0
	v_addc_co_u32_e64 v35, s[6:7], v4, v3, s[6:7]
	v_lshlrev_b64 v[0:1], 4, v[0:1]
	v_add_co_u32_e64 v44, s[6:7], s12, v0
	v_addc_co_u32_e64 v45, s[6:7], v4, v1, s[6:7]
	global_load_dwordx4 v[4:7], v[34:35], off
	global_load_dwordx4 v[0:3], v[44:45], off
	s_waitcnt vmcnt(2)
	v_subrev_u32_e32 v34, s17, v46
	v_lshlrev_b32_e32 v44, 1, v34
.LBB63_16:                              ;   in Loop: Header=BB63_14 Depth=2
	s_or_b64 exec, exec, s[30:31]
	ds_write_b32 v36, v44
	s_waitcnt vmcnt(1)
	ds_write_b128 v37, v[4:7]
	s_waitcnt vmcnt(0)
	ds_write_b128 v37, v[0:3] offset:16
	s_waitcnt lgkmcnt(0)
	; wave barrier
	s_waitcnt lgkmcnt(0)
	s_and_saveexec_b64 s[30:31], vcc
	s_cbranch_execz .LBB63_13
; %bb.17:                               ;   in Loop: Header=BB63_14 Depth=2
	s_mov_b32 s33, 0
	v_mov_b32_e32 v0, v23
.LBB63_18:                              ;   Parent Loop BB63_11 Depth=1
                                        ;     Parent Loop BB63_14 Depth=2
                                        ; =>    This Inner Loop Header: Depth=3
	v_add_u32_e32 v1, s33, v17
	ds_read_b64 v[2:3], v1
	s_add_i32 s33, s33, 8
	s_cmpk_lg_i32 s33, 0x80
	s_waitcnt lgkmcnt(0)
	v_ashrrev_i32_e32 v1, 31, v2
	v_mul_lo_u32 v44, v2, s9
	v_mad_u64_u32 v[4:5], s[6:7], v2, s8, 0
	v_mul_lo_u32 v1, v1, s8
	v_add_u32_e32 v2, 1, v2
	v_ashrrev_i32_e32 v34, 31, v3
	v_add_u32_e32 v35, 1, v3
	v_add3_u32 v5, v5, v44, v1
	v_mul_lo_u32 v45, v3, s9
	v_mad_u64_u32 v[6:7], s[6:7], v3, s8, 0
	v_ashrrev_i32_e32 v46, 31, v2
	v_mul_lo_u32 v47, v2, s9
	v_mad_u64_u32 v[2:3], s[6:7], v2, s8, 0
	v_mul_lo_u32 v48, v34, s8
	v_ashrrev_i32_e32 v49, 31, v35
	v_mul_lo_u32 v50, v35, s9
	v_mad_u64_u32 v[34:35], s[6:7], v35, s8, 0
	v_lshlrev_b64 v[4:5], 4, v[4:5]
	v_add3_u32 v7, v7, v45, v48
	v_add_co_u32_e64 v48, s[6:7], v42, v4
	v_mul_lo_u32 v1, v46, s8
	v_mul_lo_u32 v44, v49, s8
	v_lshlrev_b64 v[6:7], 4, v[6:7]
	v_addc_co_u32_e64 v49, s[6:7], v43, v5, s[6:7]
	v_add3_u32 v3, v3, v47, v1
	v_add_co_u32_e64 v6, s[6:7], v42, v6
	v_lshlrev_b64 v[2:3], 4, v[2:3]
	v_addc_co_u32_e64 v7, s[6:7], v43, v7, s[6:7]
	v_add3_u32 v35, v35, v50, v44
	v_add_co_u32_e64 v50, s[6:7], v42, v2
	v_addc_co_u32_e64 v51, s[6:7], v43, v3, s[6:7]
	global_load_dwordx4 v[2:5], v[48:49], off
	global_load_dwordx4 v[44:47], v[6:7], off
	v_lshlrev_b64 v[34:35], 4, v[34:35]
	global_load_dwordx4 v[48:51], v[50:51], off
	v_add_co_u32_e64 v6, s[6:7], v42, v34
	v_addc_co_u32_e64 v7, s[6:7], v43, v35, s[6:7]
	global_load_dwordx4 v[52:55], v[6:7], off
	ds_read_b128 v[56:59], v0
	ds_read_b128 v[60:63], v0 offset:16
	ds_read_b128 v[64:67], v0 offset:48
	ds_read_b128 v[68:71], v0 offset:64
	v_add_u32_e32 v0, 0x60, v0
	s_waitcnt vmcnt(3) lgkmcnt(3)
	v_fmac_f64_e32 v[28:29], v[56:57], v[2:3]
	v_fmac_f64_e32 v[26:27], v[58:59], v[2:3]
	v_fma_f64 v[2:3], -v[58:59], v[4:5], v[28:29]
	v_fmac_f64_e32 v[26:27], v[56:57], v[4:5]
	s_waitcnt vmcnt(1) lgkmcnt(2)
	v_fmac_f64_e32 v[2:3], v[60:61], v[48:49]
	v_fmac_f64_e32 v[26:27], v[62:63], v[48:49]
	v_fma_f64 v[2:3], -v[62:63], v[50:51], v[2:3]
	v_fmac_f64_e32 v[26:27], v[60:61], v[50:51]
	s_waitcnt lgkmcnt(1)
	v_fmac_f64_e32 v[2:3], v[64:65], v[44:45]
	v_fmac_f64_e32 v[26:27], v[66:67], v[44:45]
	v_fma_f64 v[2:3], -v[66:67], v[46:47], v[2:3]
	v_fmac_f64_e32 v[26:27], v[64:65], v[46:47]
	s_waitcnt vmcnt(0) lgkmcnt(0)
	v_fmac_f64_e32 v[2:3], v[68:69], v[52:53]
	v_fmac_f64_e32 v[26:27], v[70:71], v[52:53]
	v_fma_f64 v[28:29], -v[70:71], v[54:55], v[2:3]
	v_fmac_f64_e32 v[26:27], v[68:69], v[54:55]
	s_cbranch_scc1 .LBB63_18
	s_branch .LBB63_13
.LBB63_19:                              ;   in Loop: Header=BB63_11 Depth=1
	s_or_b64 exec, exec, s[24:25]
.LBB63_20:                              ;   in Loop: Header=BB63_11 Depth=1
	s_or_b64 exec, exec, s[20:21]
	v_cmp_gt_i32_e32 vcc, s22, v24
	s_and_saveexec_b64 s[6:7], vcc
	s_cbranch_execz .LBB63_10
; %bb.21:                               ;   in Loop: Header=BB63_11 Depth=1
	s_and_saveexec_b64 s[20:21], s[18:19]
	s_xor_b64 s[20:21], exec, s[20:21]
	s_cbranch_execz .LBB63_26
; %bb.22:                               ;   in Loop: Header=BB63_11 Depth=1
	s_mov_b64 s[24:25], -1
	s_and_b64 vcc, exec, s[28:29]
	s_cbranch_vccz .LBB63_24
; %bb.23:                               ;   in Loop: Header=BB63_11 Depth=1
	v_lshlrev_b64 v[0:1], 4, v[24:25]
	v_add_co_u32_e32 v30, vcc, v40, v0
	v_addc_co_u32_e32 v31, vcc, v41, v1, vcc
	global_load_dwordx4 v[0:3], v[30:31], off
	v_mul_f64 v[4:5], v[26:27], -v[10:11]
	v_mul_f64 v[6:7], v[8:9], v[26:27]
	v_fmac_f64_e32 v[4:5], v[8:9], v[28:29]
	v_fmac_f64_e32 v[6:7], v[10:11], v[28:29]
	s_mov_b64 s[24:25], 0
	s_waitcnt vmcnt(0)
	v_fmac_f64_e32 v[4:5], v[12:13], v[0:1]
	v_fmac_f64_e32 v[6:7], v[14:15], v[0:1]
	v_fma_f64 v[4:5], -v[14:15], v[2:3], v[4:5]
	v_fmac_f64_e32 v[6:7], v[12:13], v[2:3]
	global_store_dwordx4 v[30:31], v[4:7], off
.LBB63_24:                              ;   in Loop: Header=BB63_11 Depth=1
	s_andn2_b64 vcc, exec, s[24:25]
	s_cbranch_vccnz .LBB63_26
; %bb.25:                               ;   in Loop: Header=BB63_11 Depth=1
	v_mul_lo_u32 v2, v25, s26
	v_mul_lo_u32 v3, v24, s27
	v_mad_u64_u32 v[0:1], s[24:25], v24, s26, 0
	v_add3_u32 v1, v1, v3, v2
	v_lshlrev_b64 v[0:1], 4, v[0:1]
	v_add_co_u32_e32 v24, vcc, v38, v0
	v_addc_co_u32_e32 v25, vcc, v39, v1, vcc
	global_load_dwordx4 v[0:3], v[24:25], off
	v_mul_f64 v[4:5], v[26:27], -v[10:11]
	v_mul_f64 v[6:7], v[8:9], v[26:27]
	v_fmac_f64_e32 v[4:5], v[8:9], v[28:29]
	v_fmac_f64_e32 v[6:7], v[10:11], v[28:29]
                                        ; implicit-def: $vgpr26_vgpr27
                                        ; implicit-def: $vgpr28_vgpr29
	s_waitcnt vmcnt(0)
	v_fmac_f64_e32 v[4:5], v[12:13], v[0:1]
	v_fmac_f64_e32 v[6:7], v[14:15], v[0:1]
	v_fma_f64 v[4:5], -v[14:15], v[2:3], v[4:5]
	v_fmac_f64_e32 v[6:7], v[12:13], v[2:3]
	global_store_dwordx4 v[24:25], v[4:7], off
                                        ; implicit-def: $vgpr24
.LBB63_26:                              ;   in Loop: Header=BB63_11 Depth=1
	s_andn2_saveexec_b64 s[20:21], s[20:21]
	s_cbranch_execz .LBB63_10
; %bb.27:                               ;   in Loop: Header=BB63_11 Depth=1
	v_mul_f64 v[0:1], v[26:27], -v[10:11]
	v_mul_f64 v[2:3], v[8:9], v[26:27]
	v_fmac_f64_e32 v[0:1], v[8:9], v[28:29]
	v_fmac_f64_e32 v[2:3], v[10:11], v[28:29]
	s_mov_b64 s[20:21], -1
	s_and_b64 vcc, exec, s[28:29]
	s_cbranch_vccz .LBB63_29
; %bb.28:                               ;   in Loop: Header=BB63_11 Depth=1
	v_lshlrev_b64 v[4:5], 4, v[24:25]
	v_add_co_u32_e32 v4, vcc, v40, v4
	v_addc_co_u32_e32 v5, vcc, v41, v5, vcc
	global_store_dwordx4 v[4:5], v[0:3], off
	s_mov_b64 s[20:21], 0
.LBB63_29:                              ;   in Loop: Header=BB63_11 Depth=1
	s_andn2_b64 vcc, exec, s[20:21]
	s_cbranch_vccnz .LBB63_10
; %bb.30:                               ;   in Loop: Header=BB63_11 Depth=1
	v_mul_lo_u32 v6, v25, s26
	v_mul_lo_u32 v7, v24, s27
	v_mad_u64_u32 v[4:5], s[20:21], v24, s26, 0
	v_add3_u32 v5, v5, v7, v6
	v_lshlrev_b64 v[4:5], 4, v[4:5]
	v_add_co_u32_e32 v4, vcc, v38, v4
	v_addc_co_u32_e32 v5, vcc, v39, v5, vcc
	global_store_dwordx4 v[4:5], v[0:3], off
	s_branch .LBB63_10
.LBB63_31:
	s_endpgm
	.section	.rodata,"a",@progbits
	.p2align	6, 0x0
	.amdhsa_kernel _ZN9rocsparseL29bsrmmnt_small_blockdim_kernelILj64ELj32ELj2Eli21rocsparse_complex_numIdES2_S2_S2_EEv20rocsparse_direction_T3_S4_llNS_24const_host_device_scalarIT7_EEPKT2_PKS4_PKT4_PKT5_llS7_PT6_ll16rocsparse_order_21rocsparse_index_base_b
		.amdhsa_group_segment_fixed_size 3328
		.amdhsa_private_segment_fixed_size 24
		.amdhsa_kernarg_size 408
		.amdhsa_user_sgpr_count 8
		.amdhsa_user_sgpr_private_segment_buffer 1
		.amdhsa_user_sgpr_dispatch_ptr 0
		.amdhsa_user_sgpr_queue_ptr 0
		.amdhsa_user_sgpr_kernarg_segment_ptr 1
		.amdhsa_user_sgpr_dispatch_id 0
		.amdhsa_user_sgpr_flat_scratch_init 1
		.amdhsa_user_sgpr_kernarg_preload_length 0
		.amdhsa_user_sgpr_kernarg_preload_offset 0
		.amdhsa_user_sgpr_private_segment_size 0
		.amdhsa_uses_dynamic_stack 0
		.amdhsa_system_sgpr_private_segment_wavefront_offset 1
		.amdhsa_system_sgpr_workgroup_id_x 1
		.amdhsa_system_sgpr_workgroup_id_y 0
		.amdhsa_system_sgpr_workgroup_id_z 0
		.amdhsa_system_sgpr_workgroup_info 0
		.amdhsa_system_vgpr_workitem_id 0
		.amdhsa_next_free_vgpr 72
		.amdhsa_next_free_sgpr 34
		.amdhsa_accum_offset 72
		.amdhsa_reserve_vcc 1
		.amdhsa_reserve_flat_scratch 1
		.amdhsa_float_round_mode_32 0
		.amdhsa_float_round_mode_16_64 0
		.amdhsa_float_denorm_mode_32 3
		.amdhsa_float_denorm_mode_16_64 3
		.amdhsa_dx10_clamp 1
		.amdhsa_ieee_mode 1
		.amdhsa_fp16_overflow 0
		.amdhsa_tg_split 0
		.amdhsa_exception_fp_ieee_invalid_op 0
		.amdhsa_exception_fp_denorm_src 0
		.amdhsa_exception_fp_ieee_div_zero 0
		.amdhsa_exception_fp_ieee_overflow 0
		.amdhsa_exception_fp_ieee_underflow 0
		.amdhsa_exception_fp_ieee_inexact 0
		.amdhsa_exception_int_div_zero 0
	.end_amdhsa_kernel
	.section	.text._ZN9rocsparseL29bsrmmnt_small_blockdim_kernelILj64ELj32ELj2Eli21rocsparse_complex_numIdES2_S2_S2_EEv20rocsparse_direction_T3_S4_llNS_24const_host_device_scalarIT7_EEPKT2_PKS4_PKT4_PKT5_llS7_PT6_ll16rocsparse_order_21rocsparse_index_base_b,"axG",@progbits,_ZN9rocsparseL29bsrmmnt_small_blockdim_kernelILj64ELj32ELj2Eli21rocsparse_complex_numIdES2_S2_S2_EEv20rocsparse_direction_T3_S4_llNS_24const_host_device_scalarIT7_EEPKT2_PKS4_PKT4_PKT5_llS7_PT6_ll16rocsparse_order_21rocsparse_index_base_b,comdat
.Lfunc_end63:
	.size	_ZN9rocsparseL29bsrmmnt_small_blockdim_kernelILj64ELj32ELj2Eli21rocsparse_complex_numIdES2_S2_S2_EEv20rocsparse_direction_T3_S4_llNS_24const_host_device_scalarIT7_EEPKT2_PKS4_PKT4_PKT5_llS7_PT6_ll16rocsparse_order_21rocsparse_index_base_b, .Lfunc_end63-_ZN9rocsparseL29bsrmmnt_small_blockdim_kernelILj64ELj32ELj2Eli21rocsparse_complex_numIdES2_S2_S2_EEv20rocsparse_direction_T3_S4_llNS_24const_host_device_scalarIT7_EEPKT2_PKS4_PKT4_PKT5_llS7_PT6_ll16rocsparse_order_21rocsparse_index_base_b
                                        ; -- End function
	.section	.AMDGPU.csdata,"",@progbits
; Kernel info:
; codeLenInByte = 1876
; NumSgprs: 40
; NumVgprs: 72
; NumAgprs: 0
; TotalNumVgprs: 72
; ScratchSize: 24
; MemoryBound: 1
; FloatMode: 240
; IeeeMode: 1
; LDSByteSize: 3328 bytes/workgroup (compile time only)
; SGPRBlocks: 4
; VGPRBlocks: 8
; NumSGPRsForWavesPerEU: 40
; NumVGPRsForWavesPerEU: 72
; AccumOffset: 72
; Occupancy: 5
; WaveLimiterHint : 1
; COMPUTE_PGM_RSRC2:SCRATCH_EN: 1
; COMPUTE_PGM_RSRC2:USER_SGPR: 8
; COMPUTE_PGM_RSRC2:TRAP_HANDLER: 0
; COMPUTE_PGM_RSRC2:TGID_X_EN: 1
; COMPUTE_PGM_RSRC2:TGID_Y_EN: 0
; COMPUTE_PGM_RSRC2:TGID_Z_EN: 0
; COMPUTE_PGM_RSRC2:TIDIG_COMP_CNT: 0
; COMPUTE_PGM_RSRC3_GFX90A:ACCUM_OFFSET: 17
; COMPUTE_PGM_RSRC3_GFX90A:TG_SPLIT: 0
	.section	.text._ZN9rocsparseL29bsrmmnt_small_blockdim_kernelILj64ELj64ELj2Eli21rocsparse_complex_numIdES2_S2_S2_EEv20rocsparse_direction_T3_S4_llNS_24const_host_device_scalarIT7_EEPKT2_PKS4_PKT4_PKT5_llS7_PT6_ll16rocsparse_order_21rocsparse_index_base_b,"axG",@progbits,_ZN9rocsparseL29bsrmmnt_small_blockdim_kernelILj64ELj64ELj2Eli21rocsparse_complex_numIdES2_S2_S2_EEv20rocsparse_direction_T3_S4_llNS_24const_host_device_scalarIT7_EEPKT2_PKS4_PKT4_PKT5_llS7_PT6_ll16rocsparse_order_21rocsparse_index_base_b,comdat
	.globl	_ZN9rocsparseL29bsrmmnt_small_blockdim_kernelILj64ELj64ELj2Eli21rocsparse_complex_numIdES2_S2_S2_EEv20rocsparse_direction_T3_S4_llNS_24const_host_device_scalarIT7_EEPKT2_PKS4_PKT4_PKT5_llS7_PT6_ll16rocsparse_order_21rocsparse_index_base_b ; -- Begin function _ZN9rocsparseL29bsrmmnt_small_blockdim_kernelILj64ELj64ELj2Eli21rocsparse_complex_numIdES2_S2_S2_EEv20rocsparse_direction_T3_S4_llNS_24const_host_device_scalarIT7_EEPKT2_PKS4_PKT4_PKT5_llS7_PT6_ll16rocsparse_order_21rocsparse_index_base_b
	.p2align	8
	.type	_ZN9rocsparseL29bsrmmnt_small_blockdim_kernelILj64ELj64ELj2Eli21rocsparse_complex_numIdES2_S2_S2_EEv20rocsparse_direction_T3_S4_llNS_24const_host_device_scalarIT7_EEPKT2_PKS4_PKT4_PKT5_llS7_PT6_ll16rocsparse_order_21rocsparse_index_base_b,@function
_ZN9rocsparseL29bsrmmnt_small_blockdim_kernelILj64ELj64ELj2Eli21rocsparse_complex_numIdES2_S2_S2_EEv20rocsparse_direction_T3_S4_llNS_24const_host_device_scalarIT7_EEPKT2_PKS4_PKT4_PKT5_llS7_PT6_ll16rocsparse_order_21rocsparse_index_base_b: ; @_ZN9rocsparseL29bsrmmnt_small_blockdim_kernelILj64ELj64ELj2Eli21rocsparse_complex_numIdES2_S2_S2_EEv20rocsparse_direction_T3_S4_llNS_24const_host_device_scalarIT7_EEPKT2_PKS4_PKT4_PKT5_llS7_PT6_ll16rocsparse_order_21rocsparse_index_base_b
; %bb.0:
	s_add_u32 flat_scratch_lo, s6, s9
	s_load_dwordx4 s[16:19], s[4:5], 0x88
	s_load_dwordx4 s[20:23], s[4:5], 0x20
	s_addc_u32 flat_scratch_hi, s7, 0
	s_add_u32 s0, s0, s9
	s_load_dwordx4 s[12:15], s[4:5], 0x60
	s_addc_u32 s1, s1, 0
	s_waitcnt lgkmcnt(0)
	s_bitcmp1_b32 s18, 0
	v_mov_b32_e32 v1, 0
	v_mov_b32_e32 v3, s20
	s_cselect_b64 s[6:7], -1, 0
	v_cndmask_b32_e64 v2, v3, v1, s[6:7]
	v_mov_b32_e32 v1, s21
	s_mov_b64 s[10:11], src_private_base
	s_and_b64 vcc, s[6:7], exec
	buffer_store_dword v1, off, s[0:3], 0 offset:4
	buffer_store_dword v3, off, s[0:3], 0
	v_mov_b32_e32 v1, s13
	s_cselect_b32 s9, s11, s21
	buffer_store_dword v1, off, s[0:3], 0 offset:12
	v_mov_b32_e32 v1, s12
	buffer_store_dword v1, off, s[0:3], 0 offset:8
	v_mov_b32_e32 v3, s9
	flat_load_dwordx2 v[10:11], v[2:3]
	s_xor_b64 s[18:19], s[6:7], -1
	v_pk_mov_b32 v[12:13], s[22:23], s[22:23] op_sel:[0,1]
	s_cbranch_vccnz .LBB64_2
; %bb.1:
	v_pk_mov_b32 v[2:3], s[20:21], s[20:21] op_sel:[0,1]
	flat_load_dwordx2 v[12:13], v[2:3] offset:8
.LBB64_2:
	s_and_b64 s[20:21], s[6:7], exec
	s_cselect_b32 s9, s11, s13
	v_mov_b32_e32 v1, 8
	v_mov_b32_e32 v2, s12
	v_cndmask_b32_e64 v2, v2, v1, s[6:7]
	v_mov_b32_e32 v3, s9
	flat_load_dwordx2 v[14:15], v[2:3]
	s_andn2_b64 vcc, exec, s[18:19]
	v_pk_mov_b32 v[16:17], s[14:15], s[14:15] op_sel:[0,1]
	s_cbranch_vccnz .LBB64_4
; %bb.3:
	v_pk_mov_b32 v[2:3], s[12:13], s[12:13] op_sel:[0,1]
	flat_load_dwordx2 v[16:17], v[2:3] offset:8
.LBB64_4:
	s_waitcnt vmcnt(0) lgkmcnt(0)
	v_cmp_eq_f64_e32 vcc, 0, v[10:11]
	v_cmp_eq_f64_e64 s[6:7], 0, v[12:13]
	s_and_b64 s[12:13], vcc, s[6:7]
	s_mov_b64 s[6:7], -1
	s_and_saveexec_b64 s[10:11], s[12:13]
; %bb.5:
	v_cmp_neq_f64_e32 vcc, 1.0, v[14:15]
	v_cmp_neq_f64_e64 s[6:7], 0, v[16:17]
	s_or_b64 s[6:7], vcc, s[6:7]
	s_orn2_b64 s[6:7], s[6:7], exec
; %bb.6:
	s_or_b64 exec, exec, s[10:11]
	s_and_saveexec_b64 s[10:11], s[6:7]
	s_cbranch_execz .LBB64_31
; %bb.7:
	s_load_dword s6, s[4:5], 0xa4
	s_load_dwordx4 s[20:23], s[4:5], 0x0
	s_waitcnt lgkmcnt(0)
	s_and_b32 s6, s6, 0xffff
	s_mul_i32 s8, s8, s6
	v_add_u32_e32 v1, s8, v0
	v_lshrrev_b32_e32 v2, 7, v1
	v_cmp_gt_i32_e32 vcc, s21, v2
	s_and_b64 exec, exec, vcc
	s_cbranch_execz .LBB64_31
; %bb.8:
	s_cmp_lt_i32 s22, 1
	s_cbranch_scc1 .LBB64_31
; %bb.9:
	s_load_dwordx8 s[8:15], s[4:5], 0x30
	v_lshlrev_b32_e32 v2, 3, v2
	v_cmp_neq_f64_e32 vcc, 0, v[14:15]
	v_lshrrev_b32_e32 v9, 6, v1
	v_mul_u32_u24_e32 v6, 3, v0
	s_waitcnt lgkmcnt(0)
	global_load_dwordx4 v[2:5], v2, s[8:9]
	s_load_dwordx4 s[24:27], s[4:5], 0x70
	s_load_dwordx2 s[8:9], s[4:5], 0x50
	v_cmp_neq_f64_e64 s[4:5], 0, v[16:17]
	s_or_b64 s[18:19], vcc, s[4:5]
	s_cmp_lg_u32 s16, 1
	v_lshlrev_b32_e32 v36, 4, v6
	s_cselect_b64 s[28:29], -1, 0
	s_cmp_eq_u32 s20, 0
	s_waitcnt lgkmcnt(0)
	v_mad_u64_u32 v[6:7], s[6:7], v9, s26, 0
	s_cselect_b64 s[4:5], -1, 0
	v_mov_b32_e32 v8, v7
	v_lshlrev_b32_e32 v18, 4, v9
	v_cndmask_b32_e64 v24, 0, 1, s[4:5]
	s_and_b64 s[4:5], s[4:5], exec
	v_mad_u64_u32 v[8:9], s[4:5], v9, s27, v[8:9]
	v_mov_b32_e32 v19, s25
	v_add_co_u32_e32 v37, vcc, s24, v18
	v_mov_b32_e32 v7, v8
	v_addc_co_u32_e32 v38, vcc, 0, v19, vcc
	v_lshlrev_b64 v[6:7], 4, v[6:7]
	v_add_co_u32_e32 v39, vcc, s24, v6
	v_addc_co_u32_e32 v40, vcc, v19, v7, vcc
	v_bfe_u32 v22, v1, 6, 1
	v_mov_b32_e32 v1, 0xc00
	s_mov_b32 s23, 0
	v_lshl_or_b32 v23, v0, 2, v1
	s_cselect_b32 s16, 1, 2
	v_lshlrev_b32_e32 v22, v24, v22
	s_waitcnt vmcnt(0)
	v_subrev_co_u32_e32 v18, vcc, s17, v2
	v_subbrev_co_u32_e32 v19, vcc, 0, v3, vcc
	v_subrev_co_u32_e32 v20, vcc, s17, v4
	v_subbrev_co_u32_e32 v21, vcc, 0, v5, vcc
	v_cmp_lt_i64_e64 s[4:5], v[2:3], v[4:5]
	s_branch .LBB64_11
.LBB64_10:                              ;   in Loop: Header=BB64_11 Depth=1
	s_or_b64 exec, exec, s[6:7]
	s_add_i32 s23, s23, 64
	s_cmp_lt_i32 s23, s22
	s_cbranch_scc0 .LBB64_31
.LBB64_11:                              ; =>This Loop Header: Depth=1
                                        ;     Child Loop BB64_14 Depth 2
                                        ;       Child Loop BB64_18 Depth 3
	v_or_b32_e32 v24, s23, v0
	v_pk_mov_b32 v[26:27], 0, 0
	v_ashrrev_i32_e32 v25, 31, v24
	v_pk_mov_b32 v[28:29], v[26:27], v[26:27] op_sel:[0,1]
	s_and_saveexec_b64 s[20:21], s[4:5]
	s_cbranch_execz .LBB64_20
; %bb.12:                               ;   in Loop: Header=BB64_11 Depth=1
	v_lshlrev_b64 v[2:3], 4, v[24:25]
	v_mov_b32_e32 v4, s15
	v_add_co_u32_e64 v41, s[6:7], s14, v2
	v_pk_mov_b32 v[30:31], 0, 0
	v_cmp_gt_i32_e32 vcc, s22, v24
	v_addc_co_u32_e64 v42, s[6:7], v4, v3, s[6:7]
	s_mov_b64 s[24:25], 0
	v_pk_mov_b32 v[32:33], v[18:19], v[18:19] op_sel:[0,1]
	v_pk_mov_b32 v[26:27], v[30:31], v[30:31] op_sel:[0,1]
	;; [unrolled: 1-line block ×3, first 2 shown]
	s_branch .LBB64_14
.LBB64_13:                              ;   in Loop: Header=BB64_14 Depth=2
	s_or_b64 exec, exec, s[30:31]
	v_add_co_u32_e64 v32, s[6:7], 64, v32
	v_addc_co_u32_e64 v33, s[6:7], 0, v33, s[6:7]
	v_cmp_ge_i64_e64 s[6:7], v[32:33], v[20:21]
	s_or_b64 s[24:25], s[6:7], s[24:25]
	s_andn2_b64 exec, exec, s[24:25]
	s_cbranch_execz .LBB64_19
.LBB64_14:                              ;   Parent Loop BB64_11 Depth=1
                                        ; =>  This Loop Header: Depth=2
                                        ;       Child Loop BB64_18 Depth 3
	v_add_co_u32_e64 v34, s[6:7], v32, v0
	v_addc_co_u32_e64 v35, s[6:7], 0, v33, s[6:7]
	v_cmp_lt_i64_e64 s[6:7], v[34:35], v[20:21]
	v_mov_b32_e32 v43, 0
	v_pk_mov_b32 v[6:7], v[30:31], v[30:31] op_sel:[0,1]
	v_pk_mov_b32 v[8:9], v[30:31], v[30:31] op_sel:[0,1]
	;; [unrolled: 1-line block ×4, first 2 shown]
	s_and_saveexec_b64 s[30:31], s[6:7]
	s_cbranch_execz .LBB64_16
; %bb.15:                               ;   in Loop: Header=BB64_14 Depth=2
	v_lshlrev_b64 v[2:3], 2, v[34:35]
	v_mov_b32_e32 v5, s11
	v_add_co_u32_e64 v4, s[6:7], s10, v2
	v_addc_co_u32_e64 v5, s[6:7], v5, v3, s[6:7]
	v_or_b32_e32 v3, 0, v3
	v_or_b32_e32 v2, v2, v22
	global_load_dword v43, v[4:5], off
	v_lshlrev_b64 v[4:5], 4, v[2:3]
	v_mov_b32_e32 v6, s13
	v_add_co_u32_e64 v34, s[6:7], s12, v4
	v_or_b32_e32 v3, 0, v3
	v_or_b32_e32 v2, s16, v2
	v_addc_co_u32_e64 v35, s[6:7], v6, v5, s[6:7]
	v_lshlrev_b64 v[2:3], 4, v[2:3]
	v_add_co_u32_e64 v44, s[6:7], s12, v2
	v_addc_co_u32_e64 v45, s[6:7], v6, v3, s[6:7]
	global_load_dwordx4 v[6:9], v[34:35], off
	global_load_dwordx4 v[2:5], v[44:45], off
	s_waitcnt vmcnt(2)
	v_subrev_u32_e32 v34, s17, v43
	v_lshlrev_b32_e32 v43, 1, v34
.LBB64_16:                              ;   in Loop: Header=BB64_14 Depth=2
	s_or_b64 exec, exec, s[30:31]
	ds_write_b32 v23, v43
	s_waitcnt vmcnt(1)
	ds_write_b128 v36, v[6:9]
	s_waitcnt vmcnt(0)
	ds_write_b128 v36, v[2:5] offset:16
	s_waitcnt lgkmcnt(0)
	; wave barrier
	s_waitcnt lgkmcnt(0)
	s_and_saveexec_b64 s[30:31], vcc
	s_cbranch_execz .LBB64_13
; %bb.17:                               ;   in Loop: Header=BB64_14 Depth=2
	s_mov_b32 s33, 0
	v_mov_b32_e32 v2, 0
.LBB64_18:                              ;   Parent Loop BB64_11 Depth=1
                                        ;     Parent Loop BB64_14 Depth=2
                                        ; =>    This Inner Loop Header: Depth=3
	v_add_u32_e32 v3, s33, v1
	ds_read_b64 v[4:5], v3
	s_add_i32 s33, s33, 8
	s_cmpk_lg_i32 s33, 0x100
	s_waitcnt lgkmcnt(0)
	v_ashrrev_i32_e32 v3, 31, v4
	v_mul_lo_u32 v43, v4, s9
	v_mad_u64_u32 v[6:7], s[6:7], v4, s8, 0
	v_mul_lo_u32 v3, v3, s8
	v_add_u32_e32 v4, 1, v4
	v_ashrrev_i32_e32 v34, 31, v5
	v_add_u32_e32 v35, 1, v5
	v_add3_u32 v7, v7, v43, v3
	v_mul_lo_u32 v44, v5, s9
	v_mad_u64_u32 v[8:9], s[6:7], v5, s8, 0
	v_ashrrev_i32_e32 v45, 31, v4
	v_mul_lo_u32 v46, v4, s9
	v_mad_u64_u32 v[4:5], s[6:7], v4, s8, 0
	v_mul_lo_u32 v47, v34, s8
	v_ashrrev_i32_e32 v48, 31, v35
	v_mul_lo_u32 v49, v35, s9
	v_mad_u64_u32 v[34:35], s[6:7], v35, s8, 0
	v_lshlrev_b64 v[6:7], 4, v[6:7]
	v_add3_u32 v9, v9, v44, v47
	v_mul_lo_u32 v43, v48, s8
	v_add_co_u32_e64 v48, s[6:7], v41, v6
	v_mul_lo_u32 v3, v45, s8
	v_lshlrev_b64 v[8:9], 4, v[8:9]
	v_add3_u32 v35, v35, v49, v43
	v_addc_co_u32_e64 v49, s[6:7], v42, v7, s[6:7]
	v_add3_u32 v5, v5, v46, v3
	v_add_co_u32_e64 v8, s[6:7], v41, v8
	v_lshlrev_b64 v[4:5], 4, v[4:5]
	v_addc_co_u32_e64 v9, s[6:7], v42, v9, s[6:7]
	v_add_co_u32_e64 v50, s[6:7], v41, v4
	v_addc_co_u32_e64 v51, s[6:7], v42, v5, s[6:7]
	global_load_dwordx4 v[4:7], v[48:49], off
	global_load_dwordx4 v[44:47], v[8:9], off
	v_lshlrev_b64 v[34:35], 4, v[34:35]
	global_load_dwordx4 v[48:51], v[50:51], off
	v_add_co_u32_e64 v8, s[6:7], v41, v34
	v_addc_co_u32_e64 v9, s[6:7], v42, v35, s[6:7]
	global_load_dwordx4 v[52:55], v[8:9], off
	ds_read_b128 v[56:59], v2
	ds_read_b128 v[60:63], v2 offset:16
	ds_read_b128 v[64:67], v2 offset:48
	;; [unrolled: 1-line block ×3, first 2 shown]
	v_add_u32_e32 v2, 0x60, v2
	s_waitcnt vmcnt(3) lgkmcnt(3)
	v_fmac_f64_e32 v[28:29], v[56:57], v[4:5]
	v_fmac_f64_e32 v[26:27], v[58:59], v[4:5]
	v_fma_f64 v[4:5], -v[58:59], v[6:7], v[28:29]
	v_fmac_f64_e32 v[26:27], v[56:57], v[6:7]
	s_waitcnt vmcnt(1) lgkmcnt(2)
	v_fmac_f64_e32 v[4:5], v[60:61], v[48:49]
	v_fmac_f64_e32 v[26:27], v[62:63], v[48:49]
	v_fma_f64 v[4:5], -v[62:63], v[50:51], v[4:5]
	v_fmac_f64_e32 v[26:27], v[60:61], v[50:51]
	s_waitcnt lgkmcnt(1)
	v_fmac_f64_e32 v[4:5], v[64:65], v[44:45]
	v_fmac_f64_e32 v[26:27], v[66:67], v[44:45]
	v_fma_f64 v[4:5], -v[66:67], v[46:47], v[4:5]
	v_fmac_f64_e32 v[26:27], v[64:65], v[46:47]
	s_waitcnt vmcnt(0) lgkmcnt(0)
	v_fmac_f64_e32 v[4:5], v[68:69], v[52:53]
	v_fmac_f64_e32 v[26:27], v[70:71], v[52:53]
	v_fma_f64 v[28:29], -v[70:71], v[54:55], v[4:5]
	v_fmac_f64_e32 v[26:27], v[68:69], v[54:55]
	s_cbranch_scc1 .LBB64_18
	s_branch .LBB64_13
.LBB64_19:                              ;   in Loop: Header=BB64_11 Depth=1
	s_or_b64 exec, exec, s[24:25]
.LBB64_20:                              ;   in Loop: Header=BB64_11 Depth=1
	s_or_b64 exec, exec, s[20:21]
	v_cmp_gt_i32_e32 vcc, s22, v24
	s_and_saveexec_b64 s[6:7], vcc
	s_cbranch_execz .LBB64_10
; %bb.21:                               ;   in Loop: Header=BB64_11 Depth=1
	s_and_saveexec_b64 s[20:21], s[18:19]
	s_xor_b64 s[20:21], exec, s[20:21]
	s_cbranch_execz .LBB64_26
; %bb.22:                               ;   in Loop: Header=BB64_11 Depth=1
	s_mov_b64 s[24:25], -1
	s_and_b64 vcc, exec, s[28:29]
	s_cbranch_vccz .LBB64_24
; %bb.23:                               ;   in Loop: Header=BB64_11 Depth=1
	v_lshlrev_b64 v[2:3], 4, v[24:25]
	v_add_co_u32_e32 v30, vcc, v39, v2
	v_addc_co_u32_e32 v31, vcc, v40, v3, vcc
	global_load_dwordx4 v[2:5], v[30:31], off
	v_mul_f64 v[6:7], v[26:27], -v[12:13]
	v_mul_f64 v[8:9], v[10:11], v[26:27]
	v_fmac_f64_e32 v[6:7], v[10:11], v[28:29]
	v_fmac_f64_e32 v[8:9], v[12:13], v[28:29]
	s_mov_b64 s[24:25], 0
	s_waitcnt vmcnt(0)
	v_fmac_f64_e32 v[6:7], v[14:15], v[2:3]
	v_fmac_f64_e32 v[8:9], v[16:17], v[2:3]
	v_fma_f64 v[6:7], -v[16:17], v[4:5], v[6:7]
	v_fmac_f64_e32 v[8:9], v[14:15], v[4:5]
	global_store_dwordx4 v[30:31], v[6:9], off
.LBB64_24:                              ;   in Loop: Header=BB64_11 Depth=1
	s_andn2_b64 vcc, exec, s[24:25]
	s_cbranch_vccnz .LBB64_26
; %bb.25:                               ;   in Loop: Header=BB64_11 Depth=1
	v_mul_lo_u32 v4, v25, s26
	v_mul_lo_u32 v5, v24, s27
	v_mad_u64_u32 v[2:3], s[24:25], v24, s26, 0
	v_add3_u32 v3, v3, v5, v4
	v_lshlrev_b64 v[2:3], 4, v[2:3]
	v_add_co_u32_e32 v24, vcc, v37, v2
	v_addc_co_u32_e32 v25, vcc, v38, v3, vcc
	global_load_dwordx4 v[2:5], v[24:25], off
	v_mul_f64 v[6:7], v[26:27], -v[12:13]
	v_mul_f64 v[8:9], v[10:11], v[26:27]
	v_fmac_f64_e32 v[6:7], v[10:11], v[28:29]
	v_fmac_f64_e32 v[8:9], v[12:13], v[28:29]
                                        ; implicit-def: $vgpr26_vgpr27
                                        ; implicit-def: $vgpr28_vgpr29
	s_waitcnt vmcnt(0)
	v_fmac_f64_e32 v[6:7], v[14:15], v[2:3]
	v_fmac_f64_e32 v[8:9], v[16:17], v[2:3]
	v_fma_f64 v[6:7], -v[16:17], v[4:5], v[6:7]
	v_fmac_f64_e32 v[8:9], v[14:15], v[4:5]
	global_store_dwordx4 v[24:25], v[6:9], off
                                        ; implicit-def: $vgpr24
.LBB64_26:                              ;   in Loop: Header=BB64_11 Depth=1
	s_andn2_saveexec_b64 s[20:21], s[20:21]
	s_cbranch_execz .LBB64_10
; %bb.27:                               ;   in Loop: Header=BB64_11 Depth=1
	v_mul_f64 v[2:3], v[26:27], -v[12:13]
	v_mul_f64 v[4:5], v[10:11], v[26:27]
	v_fmac_f64_e32 v[2:3], v[10:11], v[28:29]
	v_fmac_f64_e32 v[4:5], v[12:13], v[28:29]
	s_mov_b64 s[20:21], -1
	s_and_b64 vcc, exec, s[28:29]
	s_cbranch_vccz .LBB64_29
; %bb.28:                               ;   in Loop: Header=BB64_11 Depth=1
	v_lshlrev_b64 v[6:7], 4, v[24:25]
	v_add_co_u32_e32 v6, vcc, v39, v6
	v_addc_co_u32_e32 v7, vcc, v40, v7, vcc
	global_store_dwordx4 v[6:7], v[2:5], off
	s_mov_b64 s[20:21], 0
.LBB64_29:                              ;   in Loop: Header=BB64_11 Depth=1
	s_andn2_b64 vcc, exec, s[20:21]
	s_cbranch_vccnz .LBB64_10
; %bb.30:                               ;   in Loop: Header=BB64_11 Depth=1
	v_mul_lo_u32 v8, v25, s26
	v_mul_lo_u32 v9, v24, s27
	v_mad_u64_u32 v[6:7], s[20:21], v24, s26, 0
	v_add3_u32 v7, v7, v9, v8
	v_lshlrev_b64 v[6:7], 4, v[6:7]
	v_add_co_u32_e32 v6, vcc, v37, v6
	v_addc_co_u32_e32 v7, vcc, v38, v7, vcc
	global_store_dwordx4 v[6:7], v[2:5], off
	s_branch .LBB64_10
.LBB64_31:
	s_endpgm
	.section	.rodata,"a",@progbits
	.p2align	6, 0x0
	.amdhsa_kernel _ZN9rocsparseL29bsrmmnt_small_blockdim_kernelILj64ELj64ELj2Eli21rocsparse_complex_numIdES2_S2_S2_EEv20rocsparse_direction_T3_S4_llNS_24const_host_device_scalarIT7_EEPKT2_PKS4_PKT4_PKT5_llS7_PT6_ll16rocsparse_order_21rocsparse_index_base_b
		.amdhsa_group_segment_fixed_size 3328
		.amdhsa_private_segment_fixed_size 24
		.amdhsa_kernarg_size 408
		.amdhsa_user_sgpr_count 8
		.amdhsa_user_sgpr_private_segment_buffer 1
		.amdhsa_user_sgpr_dispatch_ptr 0
		.amdhsa_user_sgpr_queue_ptr 0
		.amdhsa_user_sgpr_kernarg_segment_ptr 1
		.amdhsa_user_sgpr_dispatch_id 0
		.amdhsa_user_sgpr_flat_scratch_init 1
		.amdhsa_user_sgpr_kernarg_preload_length 0
		.amdhsa_user_sgpr_kernarg_preload_offset 0
		.amdhsa_user_sgpr_private_segment_size 0
		.amdhsa_uses_dynamic_stack 0
		.amdhsa_system_sgpr_private_segment_wavefront_offset 1
		.amdhsa_system_sgpr_workgroup_id_x 1
		.amdhsa_system_sgpr_workgroup_id_y 0
		.amdhsa_system_sgpr_workgroup_id_z 0
		.amdhsa_system_sgpr_workgroup_info 0
		.amdhsa_system_vgpr_workitem_id 0
		.amdhsa_next_free_vgpr 72
		.amdhsa_next_free_sgpr 34
		.amdhsa_accum_offset 72
		.amdhsa_reserve_vcc 1
		.amdhsa_reserve_flat_scratch 1
		.amdhsa_float_round_mode_32 0
		.amdhsa_float_round_mode_16_64 0
		.amdhsa_float_denorm_mode_32 3
		.amdhsa_float_denorm_mode_16_64 3
		.amdhsa_dx10_clamp 1
		.amdhsa_ieee_mode 1
		.amdhsa_fp16_overflow 0
		.amdhsa_tg_split 0
		.amdhsa_exception_fp_ieee_invalid_op 0
		.amdhsa_exception_fp_denorm_src 0
		.amdhsa_exception_fp_ieee_div_zero 0
		.amdhsa_exception_fp_ieee_overflow 0
		.amdhsa_exception_fp_ieee_underflow 0
		.amdhsa_exception_fp_ieee_inexact 0
		.amdhsa_exception_int_div_zero 0
	.end_amdhsa_kernel
	.section	.text._ZN9rocsparseL29bsrmmnt_small_blockdim_kernelILj64ELj64ELj2Eli21rocsparse_complex_numIdES2_S2_S2_EEv20rocsparse_direction_T3_S4_llNS_24const_host_device_scalarIT7_EEPKT2_PKS4_PKT4_PKT5_llS7_PT6_ll16rocsparse_order_21rocsparse_index_base_b,"axG",@progbits,_ZN9rocsparseL29bsrmmnt_small_blockdim_kernelILj64ELj64ELj2Eli21rocsparse_complex_numIdES2_S2_S2_EEv20rocsparse_direction_T3_S4_llNS_24const_host_device_scalarIT7_EEPKT2_PKS4_PKT4_PKT5_llS7_PT6_ll16rocsparse_order_21rocsparse_index_base_b,comdat
.Lfunc_end64:
	.size	_ZN9rocsparseL29bsrmmnt_small_blockdim_kernelILj64ELj64ELj2Eli21rocsparse_complex_numIdES2_S2_S2_EEv20rocsparse_direction_T3_S4_llNS_24const_host_device_scalarIT7_EEPKT2_PKS4_PKT4_PKT5_llS7_PT6_ll16rocsparse_order_21rocsparse_index_base_b, .Lfunc_end64-_ZN9rocsparseL29bsrmmnt_small_blockdim_kernelILj64ELj64ELj2Eli21rocsparse_complex_numIdES2_S2_S2_EEv20rocsparse_direction_T3_S4_llNS_24const_host_device_scalarIT7_EEPKT2_PKS4_PKT4_PKT5_llS7_PT6_ll16rocsparse_order_21rocsparse_index_base_b
                                        ; -- End function
	.section	.AMDGPU.csdata,"",@progbits
; Kernel info:
; codeLenInByte = 1840
; NumSgprs: 40
; NumVgprs: 72
; NumAgprs: 0
; TotalNumVgprs: 72
; ScratchSize: 24
; MemoryBound: 1
; FloatMode: 240
; IeeeMode: 1
; LDSByteSize: 3328 bytes/workgroup (compile time only)
; SGPRBlocks: 4
; VGPRBlocks: 8
; NumSGPRsForWavesPerEU: 40
; NumVGPRsForWavesPerEU: 72
; AccumOffset: 72
; Occupancy: 5
; WaveLimiterHint : 1
; COMPUTE_PGM_RSRC2:SCRATCH_EN: 1
; COMPUTE_PGM_RSRC2:USER_SGPR: 8
; COMPUTE_PGM_RSRC2:TRAP_HANDLER: 0
; COMPUTE_PGM_RSRC2:TGID_X_EN: 1
; COMPUTE_PGM_RSRC2:TGID_Y_EN: 0
; COMPUTE_PGM_RSRC2:TGID_Z_EN: 0
; COMPUTE_PGM_RSRC2:TIDIG_COMP_CNT: 0
; COMPUTE_PGM_RSRC3_GFX90A:ACCUM_OFFSET: 17
; COMPUTE_PGM_RSRC3_GFX90A:TG_SPLIT: 0
	.section	.text._ZN9rocsparseL29bsrmmnt_small_blockdim_kernelILj64ELj8ELj2Ell21rocsparse_complex_numIdES2_S2_S2_EEv20rocsparse_direction_T3_S4_llNS_24const_host_device_scalarIT7_EEPKT2_PKS4_PKT4_PKT5_llS7_PT6_ll16rocsparse_order_21rocsparse_index_base_b,"axG",@progbits,_ZN9rocsparseL29bsrmmnt_small_blockdim_kernelILj64ELj8ELj2Ell21rocsparse_complex_numIdES2_S2_S2_EEv20rocsparse_direction_T3_S4_llNS_24const_host_device_scalarIT7_EEPKT2_PKS4_PKT4_PKT5_llS7_PT6_ll16rocsparse_order_21rocsparse_index_base_b,comdat
	.globl	_ZN9rocsparseL29bsrmmnt_small_blockdim_kernelILj64ELj8ELj2Ell21rocsparse_complex_numIdES2_S2_S2_EEv20rocsparse_direction_T3_S4_llNS_24const_host_device_scalarIT7_EEPKT2_PKS4_PKT4_PKT5_llS7_PT6_ll16rocsparse_order_21rocsparse_index_base_b ; -- Begin function _ZN9rocsparseL29bsrmmnt_small_blockdim_kernelILj64ELj8ELj2Ell21rocsparse_complex_numIdES2_S2_S2_EEv20rocsparse_direction_T3_S4_llNS_24const_host_device_scalarIT7_EEPKT2_PKS4_PKT4_PKT5_llS7_PT6_ll16rocsparse_order_21rocsparse_index_base_b
	.p2align	8
	.type	_ZN9rocsparseL29bsrmmnt_small_blockdim_kernelILj64ELj8ELj2Ell21rocsparse_complex_numIdES2_S2_S2_EEv20rocsparse_direction_T3_S4_llNS_24const_host_device_scalarIT7_EEPKT2_PKS4_PKT4_PKT5_llS7_PT6_ll16rocsparse_order_21rocsparse_index_base_b,@function
_ZN9rocsparseL29bsrmmnt_small_blockdim_kernelILj64ELj8ELj2Ell21rocsparse_complex_numIdES2_S2_S2_EEv20rocsparse_direction_T3_S4_llNS_24const_host_device_scalarIT7_EEPKT2_PKS4_PKT4_PKT5_llS7_PT6_ll16rocsparse_order_21rocsparse_index_base_b: ; @_ZN9rocsparseL29bsrmmnt_small_blockdim_kernelILj64ELj8ELj2Ell21rocsparse_complex_numIdES2_S2_S2_EEv20rocsparse_direction_T3_S4_llNS_24const_host_device_scalarIT7_EEPKT2_PKS4_PKT4_PKT5_llS7_PT6_ll16rocsparse_order_21rocsparse_index_base_b
; %bb.0:
	s_add_u32 flat_scratch_lo, s6, s9
	s_load_dwordx4 s[24:27], s[4:5], 0x90
	s_load_dwordx4 s[16:19], s[4:5], 0x28
	s_addc_u32 flat_scratch_hi, s7, 0
	s_add_u32 s0, s0, s9
	s_load_dwordx4 s[12:15], s[4:5], 0x68
	s_addc_u32 s1, s1, 0
	s_waitcnt lgkmcnt(0)
	s_bitcmp1_b32 s26, 0
	v_mov_b32_e32 v1, 0
	v_mov_b32_e32 v3, s16
	s_cselect_b64 s[6:7], -1, 0
	v_cndmask_b32_e64 v2, v3, v1, s[6:7]
	v_mov_b32_e32 v1, s17
	s_mov_b64 s[10:11], src_private_base
	s_and_b64 vcc, s[6:7], exec
	buffer_store_dword v1, off, s[0:3], 0 offset:4
	buffer_store_dword v3, off, s[0:3], 0
	v_mov_b32_e32 v1, s13
	s_cselect_b32 s9, s11, s17
	buffer_store_dword v1, off, s[0:3], 0 offset:12
	v_mov_b32_e32 v1, s12
	buffer_store_dword v1, off, s[0:3], 0 offset:8
	v_mov_b32_e32 v3, s9
	flat_load_dwordx2 v[8:9], v[2:3]
	s_xor_b64 s[20:21], s[6:7], -1
	v_pk_mov_b32 v[10:11], s[18:19], s[18:19] op_sel:[0,1]
	s_cbranch_vccnz .LBB65_2
; %bb.1:
	v_pk_mov_b32 v[2:3], s[16:17], s[16:17] op_sel:[0,1]
	flat_load_dwordx2 v[10:11], v[2:3] offset:8
.LBB65_2:
	s_and_b64 s[16:17], s[6:7], exec
	s_cselect_b32 s9, s11, s13
	v_mov_b32_e32 v1, 8
	v_mov_b32_e32 v2, s12
	v_cndmask_b32_e64 v2, v2, v1, s[6:7]
	v_mov_b32_e32 v3, s9
	flat_load_dwordx2 v[12:13], v[2:3]
	s_andn2_b64 vcc, exec, s[20:21]
	v_pk_mov_b32 v[14:15], s[14:15], s[14:15] op_sel:[0,1]
	s_cbranch_vccnz .LBB65_4
; %bb.3:
	v_pk_mov_b32 v[2:3], s[12:13], s[12:13] op_sel:[0,1]
	flat_load_dwordx2 v[14:15], v[2:3] offset:8
.LBB65_4:
	s_waitcnt vmcnt(0) lgkmcnt(0)
	v_cmp_eq_f64_e32 vcc, 0, v[8:9]
	v_cmp_eq_f64_e64 s[6:7], 0, v[10:11]
	s_and_b64 s[12:13], vcc, s[6:7]
	s_mov_b64 s[6:7], -1
	s_and_saveexec_b64 s[10:11], s[12:13]
; %bb.5:
	v_cmp_neq_f64_e32 vcc, 1.0, v[12:13]
	v_cmp_neq_f64_e64 s[6:7], 0, v[14:15]
	s_or_b64 s[6:7], vcc, s[6:7]
	s_orn2_b64 s[6:7], s[6:7], exec
; %bb.6:
	s_or_b64 exec, exec, s[10:11]
	s_and_saveexec_b64 s[10:11], s[6:7]
	s_cbranch_execz .LBB65_31
; %bb.7:
	s_load_dword s6, s[4:5], 0xac
	s_load_dwordx4 s[16:19], s[4:5], 0x8
	v_mov_b32_e32 v3, 0
	s_waitcnt lgkmcnt(0)
	s_and_b32 s6, s6, 0xffff
	s_mul_i32 s8, s8, s6
	v_add_u32_e32 v1, s8, v0
	v_lshrrev_b32_e32 v2, 4, v1
	v_cmp_gt_i64_e32 vcc, s[16:17], v[2:3]
	s_and_b64 exec, exec, vcc
	s_cbranch_execz .LBB65_31
; %bb.8:
	v_cmp_lt_i64_e64 s[6:7], s[18:19], 1
	s_and_b64 vcc, exec, s[6:7]
	s_cbranch_vccnz .LBB65_31
; %bb.9:
	s_load_dwordx8 s[8:15], s[4:5], 0x38
	v_lshlrev_b32_e32 v2, 3, v2
	v_and_b32_e32 v16, 7, v0
	v_cmp_neq_f64_e32 vcc, 0, v[12:13]
	v_lshrrev_b32_e32 v6, 3, v1
	s_waitcnt lgkmcnt(0)
	global_load_dwordx4 v[2:5], v2, s[8:9]
	s_load_dword s6, s[4:5], 0x0
	s_load_dwordx4 s[20:23], s[4:5], 0x78
	s_load_dwordx2 s[8:9], s[4:5], 0x58
	v_cmp_neq_f64_e64 s[4:5], 0, v[14:15]
	v_mov_b32_e32 v7, 0
	v_lshrrev_b32_e32 v20, 3, v0
	v_mov_b32_e32 v0, 0xc00
	s_or_b64 s[26:27], vcc, s[4:5]
	v_mul_u32_u24_e32 v21, 3, v16
	v_bfe_u32 v18, v1, 3, 1
	s_movk_i32 s7, 0x180
	v_mov_b32_e32 v19, v7
	v_lshl_or_b32 v17, v20, 6, v0
	v_lshlrev_b64 v[0:1], 4, v[6:7]
	s_cmp_lg_u32 s24, 1
	v_lshlrev_b32_e32 v7, 4, v21
	v_mul_u32_u24_e32 v38, 0x180, v20
	s_cselect_b64 s[28:29], -1, 0
	v_mad_u32_u24 v40, v20, s7, v7
	s_waitcnt lgkmcnt(0)
	s_cmp_eq_u32 s6, 0
	v_mad_u64_u32 v[20:21], s[4:5], v6, s22, 0
	v_mov_b32_e32 v7, s21
	v_mov_b32_e32 v22, v21
	v_add_co_u32_e32 v41, vcc, s20, v0
	s_cselect_b64 s[4:5], -1, 0
	v_addc_co_u32_e32 v42, vcc, v7, v1, vcc
	v_cndmask_b32_e64 v21, 0, 1, s[4:5]
	v_mad_u64_u32 v[0:1], s[6:7], v6, s23, v[22:23]
	v_lshlrev_b64 v[18:19], v21, v[18:19]
	v_mov_b32_e32 v21, v0
	v_lshlrev_b64 v[0:1], 4, v[20:21]
	v_add_co_u32_e32 v43, vcc, s20, v0
	v_addc_co_u32_e32 v44, vcc, v7, v1, vcc
	s_and_b64 s[4:5], s[4:5], exec
	s_mov_b32 s33, 0
	s_mov_b32 s36, s25
	s_mov_b64 s[16:17], 0
	v_lshl_or_b32 v39, v16, 3, v17
	s_cselect_b32 s37, 1, 2
	s_lshl_b64 s[20:21], s[8:9], 4
	s_waitcnt vmcnt(0)
	v_subrev_co_u32_e32 v20, vcc, s25, v2
	v_subbrev_co_u32_e32 v21, vcc, 0, v3, vcc
	v_subrev_co_u32_e32 v22, vcc, s25, v4
	v_subbrev_co_u32_e32 v23, vcc, 0, v5, vcc
	v_cmp_lt_i64_e64 s[4:5], v[2:3], v[4:5]
	s_branch .LBB65_11
.LBB65_10:                              ;   in Loop: Header=BB65_11 Depth=1
	s_or_b64 exec, exec, s[6:7]
	s_add_u32 s16, s16, 8
	s_addc_u32 s17, s17, 0
	v_pk_mov_b32 v[0:1], s[18:19], s[18:19] op_sel:[0,1]
	v_cmp_lt_i64_e32 vcc, s[16:17], v[0:1]
	s_cbranch_vccz .LBB65_31
.LBB65_11:                              ; =>This Loop Header: Depth=1
                                        ;     Child Loop BB65_14 Depth 2
                                        ;       Child Loop BB65_18 Depth 3
	v_pk_mov_b32 v[26:27], 0, 0
	v_or_b32_e64 v25, s17, 0
	v_or_b32_e32 v24, s16, v16
	v_pk_mov_b32 v[28:29], v[26:27], v[26:27] op_sel:[0,1]
	s_and_saveexec_b64 s[24:25], s[4:5]
	s_cbranch_execz .LBB65_20
; %bb.12:                               ;   in Loop: Header=BB65_11 Depth=1
	v_lshlrev_b64 v[0:1], 4, v[24:25]
	v_mov_b32_e32 v2, s15
	v_add_co_u32_e64 v45, s[6:7], s14, v0
	v_pk_mov_b32 v[30:31], 0, 0
	v_cmp_gt_i64_e32 vcc, s[18:19], v[24:25]
	v_addc_co_u32_e64 v46, s[6:7], v2, v1, s[6:7]
	s_mov_b64 s[30:31], 0
	v_pk_mov_b32 v[32:33], v[20:21], v[20:21] op_sel:[0,1]
	v_pk_mov_b32 v[26:27], v[30:31], v[30:31] op_sel:[0,1]
	;; [unrolled: 1-line block ×3, first 2 shown]
	s_branch .LBB65_14
.LBB65_13:                              ;   in Loop: Header=BB65_14 Depth=2
	s_or_b64 exec, exec, s[34:35]
	v_add_co_u32_e64 v32, s[6:7], 8, v32
	v_addc_co_u32_e64 v33, s[6:7], 0, v33, s[6:7]
	v_cmp_ge_i64_e64 s[6:7], v[32:33], v[22:23]
	s_or_b64 s[30:31], s[6:7], s[30:31]
	s_andn2_b64 exec, exec, s[30:31]
	s_cbranch_execz .LBB65_19
.LBB65_14:                              ;   Parent Loop BB65_11 Depth=1
                                        ; =>  This Loop Header: Depth=2
                                        ;       Child Loop BB65_18 Depth 3
	v_add_co_u32_e64 v36, s[6:7], v32, v16
	v_addc_co_u32_e64 v37, s[6:7], 0, v33, s[6:7]
	v_cmp_lt_i64_e64 s[6:7], v[36:37], v[22:23]
	v_pk_mov_b32 v[34:35], v[30:31], v[30:31] op_sel:[0,1]
	v_pk_mov_b32 v[4:5], v[30:31], v[30:31] op_sel:[0,1]
	;; [unrolled: 1-line block ×5, first 2 shown]
	s_and_saveexec_b64 s[34:35], s[6:7]
	s_cbranch_execz .LBB65_16
; %bb.15:                               ;   in Loop: Header=BB65_14 Depth=2
	v_lshlrev_b64 v[0:1], 3, v[36:37]
	v_mov_b32_e32 v2, s11
	v_add_co_u32_e64 v0, s[6:7], s10, v0
	v_addc_co_u32_e64 v1, s[6:7], v2, v1, s[6:7]
	global_load_dwordx2 v[34:35], v[0:1], off
	v_lshlrev_b64 v[0:1], 2, v[36:37]
	v_or_b32_e32 v1, v1, v19
	v_or_b32_e32 v0, v0, v18
	v_lshlrev_b64 v[2:3], 4, v[0:1]
	v_mov_b32_e32 v4, s13
	v_add_co_u32_e64 v36, s[6:7], s12, v2
	v_or_b32_e32 v1, 0, v1
	v_or_b32_e32 v0, s37, v0
	v_addc_co_u32_e64 v37, s[6:7], v4, v3, s[6:7]
	v_lshlrev_b64 v[0:1], 4, v[0:1]
	v_add_co_u32_e64 v48, s[6:7], s12, v0
	v_addc_co_u32_e64 v49, s[6:7], v4, v1, s[6:7]
	global_load_dwordx4 v[4:7], v[36:37], off
	global_load_dwordx4 v[0:3], v[48:49], off
	v_mov_b32_e32 v36, s33
	s_waitcnt vmcnt(2)
	v_subrev_co_u32_e64 v34, s[6:7], s36, v34
	v_subb_co_u32_e64 v35, s[6:7], v35, v36, s[6:7]
	v_lshlrev_b64 v[34:35], 1, v[34:35]
.LBB65_16:                              ;   in Loop: Header=BB65_14 Depth=2
	s_or_b64 exec, exec, s[34:35]
	ds_write_b64 v39, v[34:35]
	s_waitcnt vmcnt(1)
	ds_write_b128 v40, v[4:7]
	s_waitcnt vmcnt(0)
	ds_write_b128 v40, v[0:3] offset:16
	s_waitcnt lgkmcnt(0)
	; wave barrier
	s_waitcnt lgkmcnt(0)
	s_and_saveexec_b64 s[34:35], vcc
	s_cbranch_execz .LBB65_13
; %bb.17:                               ;   in Loop: Header=BB65_14 Depth=2
	s_mov_b32 s38, 0
	v_mov_b32_e32 v0, v38
.LBB65_18:                              ;   Parent Loop BB65_11 Depth=1
                                        ;     Parent Loop BB65_14 Depth=2
                                        ; =>    This Inner Loop Header: Depth=3
	v_add_u32_e32 v1, s38, v17
	ds_read_b128 v[2:5], v1
	v_mov_b32_e32 v47, s21
	s_add_i32 s38, s38, 16
	s_cmp_lg_u32 s38, 64
	s_waitcnt lgkmcnt(0)
	v_mul_lo_u32 v1, v3, s8
	v_mul_lo_u32 v6, v2, s9
	v_mad_u64_u32 v[2:3], s[6:7], v2, s8, 0
	v_add3_u32 v3, v3, v6, v1
	v_mul_lo_u32 v7, v5, s8
	v_mul_lo_u32 v34, v4, s9
	v_mad_u64_u32 v[4:5], s[6:7], v4, s8, 0
	v_lshlrev_b64 v[2:3], 4, v[2:3]
	v_add3_u32 v5, v5, v34, v7
	v_add_co_u32_e64 v6, s[6:7], v45, v2
	v_lshlrev_b64 v[4:5], 4, v[4:5]
	v_addc_co_u32_e64 v7, s[6:7], v46, v3, s[6:7]
	v_add_co_u32_e64 v52, s[6:7], v45, v4
	v_addc_co_u32_e64 v53, s[6:7], v46, v5, s[6:7]
	v_add_co_u32_e64 v48, s[6:7], s20, v6
	v_addc_co_u32_e64 v49, s[6:7], v7, v47, s[6:7]
	global_load_dwordx4 v[2:5], v[6:7], off
	global_load_dwordx4 v[34:37], v[52:53], off
	v_add_co_u32_e64 v6, s[6:7], s20, v52
	global_load_dwordx4 v[48:51], v[48:49], off
	v_addc_co_u32_e64 v7, s[6:7], v53, v47, s[6:7]
	global_load_dwordx4 v[52:55], v[6:7], off
	ds_read_b128 v[56:59], v0
	ds_read_b128 v[60:63], v0 offset:16
	ds_read_b128 v[64:67], v0 offset:48
	;; [unrolled: 1-line block ×3, first 2 shown]
	v_add_u32_e32 v0, 0x60, v0
	s_waitcnt vmcnt(3) lgkmcnt(3)
	v_fmac_f64_e32 v[28:29], v[56:57], v[2:3]
	v_fmac_f64_e32 v[26:27], v[58:59], v[2:3]
	v_fma_f64 v[2:3], -v[58:59], v[4:5], v[28:29]
	v_fmac_f64_e32 v[26:27], v[56:57], v[4:5]
	s_waitcnt vmcnt(1) lgkmcnt(2)
	v_fmac_f64_e32 v[2:3], v[60:61], v[48:49]
	v_fmac_f64_e32 v[26:27], v[62:63], v[48:49]
	v_fma_f64 v[2:3], -v[62:63], v[50:51], v[2:3]
	v_fmac_f64_e32 v[26:27], v[60:61], v[50:51]
	s_waitcnt lgkmcnt(1)
	v_fmac_f64_e32 v[2:3], v[64:65], v[34:35]
	v_fmac_f64_e32 v[26:27], v[66:67], v[34:35]
	v_fma_f64 v[2:3], -v[66:67], v[36:37], v[2:3]
	v_fmac_f64_e32 v[26:27], v[64:65], v[36:37]
	s_waitcnt vmcnt(0) lgkmcnt(0)
	v_fmac_f64_e32 v[2:3], v[68:69], v[52:53]
	v_fmac_f64_e32 v[26:27], v[70:71], v[52:53]
	v_fma_f64 v[28:29], -v[70:71], v[54:55], v[2:3]
	v_fmac_f64_e32 v[26:27], v[68:69], v[54:55]
	s_cbranch_scc1 .LBB65_18
	s_branch .LBB65_13
.LBB65_19:                              ;   in Loop: Header=BB65_11 Depth=1
	s_or_b64 exec, exec, s[30:31]
.LBB65_20:                              ;   in Loop: Header=BB65_11 Depth=1
	s_or_b64 exec, exec, s[24:25]
	v_cmp_gt_i64_e32 vcc, s[18:19], v[24:25]
	s_and_saveexec_b64 s[6:7], vcc
	s_cbranch_execz .LBB65_10
; %bb.21:                               ;   in Loop: Header=BB65_11 Depth=1
	s_and_saveexec_b64 s[24:25], s[26:27]
	s_xor_b64 s[24:25], exec, s[24:25]
	s_cbranch_execz .LBB65_26
; %bb.22:                               ;   in Loop: Header=BB65_11 Depth=1
	s_mov_b64 s[30:31], -1
	s_and_b64 vcc, exec, s[28:29]
	s_cbranch_vccz .LBB65_24
; %bb.23:                               ;   in Loop: Header=BB65_11 Depth=1
	v_lshlrev_b64 v[0:1], 4, v[24:25]
	v_add_co_u32_e32 v30, vcc, v43, v0
	v_addc_co_u32_e32 v31, vcc, v44, v1, vcc
	global_load_dwordx4 v[0:3], v[30:31], off
	v_mul_f64 v[4:5], v[26:27], -v[10:11]
	v_mul_f64 v[6:7], v[8:9], v[26:27]
	v_fmac_f64_e32 v[4:5], v[8:9], v[28:29]
	v_fmac_f64_e32 v[6:7], v[10:11], v[28:29]
	s_mov_b64 s[30:31], 0
	s_waitcnt vmcnt(0)
	v_fmac_f64_e32 v[4:5], v[12:13], v[0:1]
	v_fmac_f64_e32 v[6:7], v[14:15], v[0:1]
	v_fma_f64 v[4:5], -v[14:15], v[2:3], v[4:5]
	v_fmac_f64_e32 v[6:7], v[12:13], v[2:3]
	global_store_dwordx4 v[30:31], v[4:7], off
.LBB65_24:                              ;   in Loop: Header=BB65_11 Depth=1
	s_andn2_b64 vcc, exec, s[30:31]
	s_cbranch_vccnz .LBB65_26
; %bb.25:                               ;   in Loop: Header=BB65_11 Depth=1
	v_mul_lo_u32 v2, v25, s22
	v_mul_lo_u32 v3, v24, s23
	v_mad_u64_u32 v[0:1], s[30:31], v24, s22, 0
	v_add3_u32 v1, v1, v3, v2
	v_lshlrev_b64 v[0:1], 4, v[0:1]
	v_add_co_u32_e32 v24, vcc, v41, v0
	v_addc_co_u32_e32 v25, vcc, v42, v1, vcc
	global_load_dwordx4 v[0:3], v[24:25], off
	v_mul_f64 v[4:5], v[26:27], -v[10:11]
	v_mul_f64 v[6:7], v[8:9], v[26:27]
	v_fmac_f64_e32 v[4:5], v[8:9], v[28:29]
	v_fmac_f64_e32 v[6:7], v[10:11], v[28:29]
                                        ; implicit-def: $vgpr26_vgpr27
                                        ; implicit-def: $vgpr28_vgpr29
	s_waitcnt vmcnt(0)
	v_fmac_f64_e32 v[4:5], v[12:13], v[0:1]
	v_fmac_f64_e32 v[6:7], v[14:15], v[0:1]
	v_fma_f64 v[4:5], -v[14:15], v[2:3], v[4:5]
	v_fmac_f64_e32 v[6:7], v[12:13], v[2:3]
	global_store_dwordx4 v[24:25], v[4:7], off
                                        ; implicit-def: $vgpr24_vgpr25
.LBB65_26:                              ;   in Loop: Header=BB65_11 Depth=1
	s_andn2_saveexec_b64 s[24:25], s[24:25]
	s_cbranch_execz .LBB65_10
; %bb.27:                               ;   in Loop: Header=BB65_11 Depth=1
	v_mul_f64 v[0:1], v[26:27], -v[10:11]
	v_mul_f64 v[2:3], v[8:9], v[26:27]
	v_fmac_f64_e32 v[0:1], v[8:9], v[28:29]
	v_fmac_f64_e32 v[2:3], v[10:11], v[28:29]
	s_mov_b64 s[24:25], -1
	s_and_b64 vcc, exec, s[28:29]
	s_cbranch_vccz .LBB65_29
; %bb.28:                               ;   in Loop: Header=BB65_11 Depth=1
	v_lshlrev_b64 v[4:5], 4, v[24:25]
	v_add_co_u32_e32 v4, vcc, v43, v4
	v_addc_co_u32_e32 v5, vcc, v44, v5, vcc
	global_store_dwordx4 v[4:5], v[0:3], off
	s_mov_b64 s[24:25], 0
.LBB65_29:                              ;   in Loop: Header=BB65_11 Depth=1
	s_andn2_b64 vcc, exec, s[24:25]
	s_cbranch_vccnz .LBB65_10
; %bb.30:                               ;   in Loop: Header=BB65_11 Depth=1
	v_mul_lo_u32 v6, v25, s22
	v_mul_lo_u32 v7, v24, s23
	v_mad_u64_u32 v[4:5], s[24:25], v24, s22, 0
	v_add3_u32 v5, v5, v7, v6
	v_lshlrev_b64 v[4:5], 4, v[4:5]
	v_add_co_u32_e32 v4, vcc, v41, v4
	v_addc_co_u32_e32 v5, vcc, v42, v5, vcc
	global_store_dwordx4 v[4:5], v[0:3], off
	s_branch .LBB65_10
.LBB65_31:
	s_endpgm
	.section	.rodata,"a",@progbits
	.p2align	6, 0x0
	.amdhsa_kernel _ZN9rocsparseL29bsrmmnt_small_blockdim_kernelILj64ELj8ELj2Ell21rocsparse_complex_numIdES2_S2_S2_EEv20rocsparse_direction_T3_S4_llNS_24const_host_device_scalarIT7_EEPKT2_PKS4_PKT4_PKT5_llS7_PT6_ll16rocsparse_order_21rocsparse_index_base_b
		.amdhsa_group_segment_fixed_size 3584
		.amdhsa_private_segment_fixed_size 24
		.amdhsa_kernarg_size 416
		.amdhsa_user_sgpr_count 8
		.amdhsa_user_sgpr_private_segment_buffer 1
		.amdhsa_user_sgpr_dispatch_ptr 0
		.amdhsa_user_sgpr_queue_ptr 0
		.amdhsa_user_sgpr_kernarg_segment_ptr 1
		.amdhsa_user_sgpr_dispatch_id 0
		.amdhsa_user_sgpr_flat_scratch_init 1
		.amdhsa_user_sgpr_kernarg_preload_length 0
		.amdhsa_user_sgpr_kernarg_preload_offset 0
		.amdhsa_user_sgpr_private_segment_size 0
		.amdhsa_uses_dynamic_stack 0
		.amdhsa_system_sgpr_private_segment_wavefront_offset 1
		.amdhsa_system_sgpr_workgroup_id_x 1
		.amdhsa_system_sgpr_workgroup_id_y 0
		.amdhsa_system_sgpr_workgroup_id_z 0
		.amdhsa_system_sgpr_workgroup_info 0
		.amdhsa_system_vgpr_workitem_id 0
		.amdhsa_next_free_vgpr 72
		.amdhsa_next_free_sgpr 39
		.amdhsa_accum_offset 72
		.amdhsa_reserve_vcc 1
		.amdhsa_reserve_flat_scratch 1
		.amdhsa_float_round_mode_32 0
		.amdhsa_float_round_mode_16_64 0
		.amdhsa_float_denorm_mode_32 3
		.amdhsa_float_denorm_mode_16_64 3
		.amdhsa_dx10_clamp 1
		.amdhsa_ieee_mode 1
		.amdhsa_fp16_overflow 0
		.amdhsa_tg_split 0
		.amdhsa_exception_fp_ieee_invalid_op 0
		.amdhsa_exception_fp_denorm_src 0
		.amdhsa_exception_fp_ieee_div_zero 0
		.amdhsa_exception_fp_ieee_overflow 0
		.amdhsa_exception_fp_ieee_underflow 0
		.amdhsa_exception_fp_ieee_inexact 0
		.amdhsa_exception_int_div_zero 0
	.end_amdhsa_kernel
	.section	.text._ZN9rocsparseL29bsrmmnt_small_blockdim_kernelILj64ELj8ELj2Ell21rocsparse_complex_numIdES2_S2_S2_EEv20rocsparse_direction_T3_S4_llNS_24const_host_device_scalarIT7_EEPKT2_PKS4_PKT4_PKT5_llS7_PT6_ll16rocsparse_order_21rocsparse_index_base_b,"axG",@progbits,_ZN9rocsparseL29bsrmmnt_small_blockdim_kernelILj64ELj8ELj2Ell21rocsparse_complex_numIdES2_S2_S2_EEv20rocsparse_direction_T3_S4_llNS_24const_host_device_scalarIT7_EEPKT2_PKS4_PKT4_PKT5_llS7_PT6_ll16rocsparse_order_21rocsparse_index_base_b,comdat
.Lfunc_end65:
	.size	_ZN9rocsparseL29bsrmmnt_small_blockdim_kernelILj64ELj8ELj2Ell21rocsparse_complex_numIdES2_S2_S2_EEv20rocsparse_direction_T3_S4_llNS_24const_host_device_scalarIT7_EEPKT2_PKS4_PKT4_PKT5_llS7_PT6_ll16rocsparse_order_21rocsparse_index_base_b, .Lfunc_end65-_ZN9rocsparseL29bsrmmnt_small_blockdim_kernelILj64ELj8ELj2Ell21rocsparse_complex_numIdES2_S2_S2_EEv20rocsparse_direction_T3_S4_llNS_24const_host_device_scalarIT7_EEPKT2_PKS4_PKT4_PKT5_llS7_PT6_ll16rocsparse_order_21rocsparse_index_base_b
                                        ; -- End function
	.section	.AMDGPU.csdata,"",@progbits
; Kernel info:
; codeLenInByte = 1872
; NumSgprs: 45
; NumVgprs: 72
; NumAgprs: 0
; TotalNumVgprs: 72
; ScratchSize: 24
; MemoryBound: 1
; FloatMode: 240
; IeeeMode: 1
; LDSByteSize: 3584 bytes/workgroup (compile time only)
; SGPRBlocks: 5
; VGPRBlocks: 8
; NumSGPRsForWavesPerEU: 45
; NumVGPRsForWavesPerEU: 72
; AccumOffset: 72
; Occupancy: 5
; WaveLimiterHint : 1
; COMPUTE_PGM_RSRC2:SCRATCH_EN: 1
; COMPUTE_PGM_RSRC2:USER_SGPR: 8
; COMPUTE_PGM_RSRC2:TRAP_HANDLER: 0
; COMPUTE_PGM_RSRC2:TGID_X_EN: 1
; COMPUTE_PGM_RSRC2:TGID_Y_EN: 0
; COMPUTE_PGM_RSRC2:TGID_Z_EN: 0
; COMPUTE_PGM_RSRC2:TIDIG_COMP_CNT: 0
; COMPUTE_PGM_RSRC3_GFX90A:ACCUM_OFFSET: 17
; COMPUTE_PGM_RSRC3_GFX90A:TG_SPLIT: 0
	.section	.text._ZN9rocsparseL29bsrmmnt_small_blockdim_kernelILj64ELj16ELj2Ell21rocsparse_complex_numIdES2_S2_S2_EEv20rocsparse_direction_T3_S4_llNS_24const_host_device_scalarIT7_EEPKT2_PKS4_PKT4_PKT5_llS7_PT6_ll16rocsparse_order_21rocsparse_index_base_b,"axG",@progbits,_ZN9rocsparseL29bsrmmnt_small_blockdim_kernelILj64ELj16ELj2Ell21rocsparse_complex_numIdES2_S2_S2_EEv20rocsparse_direction_T3_S4_llNS_24const_host_device_scalarIT7_EEPKT2_PKS4_PKT4_PKT5_llS7_PT6_ll16rocsparse_order_21rocsparse_index_base_b,comdat
	.globl	_ZN9rocsparseL29bsrmmnt_small_blockdim_kernelILj64ELj16ELj2Ell21rocsparse_complex_numIdES2_S2_S2_EEv20rocsparse_direction_T3_S4_llNS_24const_host_device_scalarIT7_EEPKT2_PKS4_PKT4_PKT5_llS7_PT6_ll16rocsparse_order_21rocsparse_index_base_b ; -- Begin function _ZN9rocsparseL29bsrmmnt_small_blockdim_kernelILj64ELj16ELj2Ell21rocsparse_complex_numIdES2_S2_S2_EEv20rocsparse_direction_T3_S4_llNS_24const_host_device_scalarIT7_EEPKT2_PKS4_PKT4_PKT5_llS7_PT6_ll16rocsparse_order_21rocsparse_index_base_b
	.p2align	8
	.type	_ZN9rocsparseL29bsrmmnt_small_blockdim_kernelILj64ELj16ELj2Ell21rocsparse_complex_numIdES2_S2_S2_EEv20rocsparse_direction_T3_S4_llNS_24const_host_device_scalarIT7_EEPKT2_PKS4_PKT4_PKT5_llS7_PT6_ll16rocsparse_order_21rocsparse_index_base_b,@function
_ZN9rocsparseL29bsrmmnt_small_blockdim_kernelILj64ELj16ELj2Ell21rocsparse_complex_numIdES2_S2_S2_EEv20rocsparse_direction_T3_S4_llNS_24const_host_device_scalarIT7_EEPKT2_PKS4_PKT4_PKT5_llS7_PT6_ll16rocsparse_order_21rocsparse_index_base_b: ; @_ZN9rocsparseL29bsrmmnt_small_blockdim_kernelILj64ELj16ELj2Ell21rocsparse_complex_numIdES2_S2_S2_EEv20rocsparse_direction_T3_S4_llNS_24const_host_device_scalarIT7_EEPKT2_PKS4_PKT4_PKT5_llS7_PT6_ll16rocsparse_order_21rocsparse_index_base_b
; %bb.0:
	s_add_u32 flat_scratch_lo, s6, s9
	s_load_dwordx4 s[24:27], s[4:5], 0x90
	s_load_dwordx4 s[16:19], s[4:5], 0x28
	s_addc_u32 flat_scratch_hi, s7, 0
	s_add_u32 s0, s0, s9
	s_load_dwordx4 s[12:15], s[4:5], 0x68
	s_addc_u32 s1, s1, 0
	s_waitcnt lgkmcnt(0)
	s_bitcmp1_b32 s26, 0
	v_mov_b32_e32 v1, 0
	v_mov_b32_e32 v3, s16
	s_cselect_b64 s[6:7], -1, 0
	v_cndmask_b32_e64 v2, v3, v1, s[6:7]
	v_mov_b32_e32 v1, s17
	s_mov_b64 s[10:11], src_private_base
	s_and_b64 vcc, s[6:7], exec
	buffer_store_dword v1, off, s[0:3], 0 offset:4
	buffer_store_dword v3, off, s[0:3], 0
	v_mov_b32_e32 v1, s13
	s_cselect_b32 s9, s11, s17
	buffer_store_dword v1, off, s[0:3], 0 offset:12
	v_mov_b32_e32 v1, s12
	buffer_store_dword v1, off, s[0:3], 0 offset:8
	v_mov_b32_e32 v3, s9
	flat_load_dwordx2 v[8:9], v[2:3]
	s_xor_b64 s[20:21], s[6:7], -1
	v_pk_mov_b32 v[10:11], s[18:19], s[18:19] op_sel:[0,1]
	s_cbranch_vccnz .LBB66_2
; %bb.1:
	v_pk_mov_b32 v[2:3], s[16:17], s[16:17] op_sel:[0,1]
	flat_load_dwordx2 v[10:11], v[2:3] offset:8
.LBB66_2:
	s_and_b64 s[16:17], s[6:7], exec
	s_cselect_b32 s9, s11, s13
	v_mov_b32_e32 v1, 8
	v_mov_b32_e32 v2, s12
	v_cndmask_b32_e64 v2, v2, v1, s[6:7]
	v_mov_b32_e32 v3, s9
	flat_load_dwordx2 v[12:13], v[2:3]
	s_andn2_b64 vcc, exec, s[20:21]
	v_pk_mov_b32 v[14:15], s[14:15], s[14:15] op_sel:[0,1]
	s_cbranch_vccnz .LBB66_4
; %bb.3:
	v_pk_mov_b32 v[2:3], s[12:13], s[12:13] op_sel:[0,1]
	flat_load_dwordx2 v[14:15], v[2:3] offset:8
.LBB66_4:
	s_waitcnt vmcnt(0) lgkmcnt(0)
	v_cmp_eq_f64_e32 vcc, 0, v[8:9]
	v_cmp_eq_f64_e64 s[6:7], 0, v[10:11]
	s_and_b64 s[12:13], vcc, s[6:7]
	s_mov_b64 s[6:7], -1
	s_and_saveexec_b64 s[10:11], s[12:13]
; %bb.5:
	v_cmp_neq_f64_e32 vcc, 1.0, v[12:13]
	v_cmp_neq_f64_e64 s[6:7], 0, v[14:15]
	s_or_b64 s[6:7], vcc, s[6:7]
	s_orn2_b64 s[6:7], s[6:7], exec
; %bb.6:
	s_or_b64 exec, exec, s[10:11]
	s_and_saveexec_b64 s[10:11], s[6:7]
	s_cbranch_execz .LBB66_31
; %bb.7:
	s_load_dword s6, s[4:5], 0xac
	s_load_dwordx4 s[16:19], s[4:5], 0x8
	v_mov_b32_e32 v3, 0
	s_waitcnt lgkmcnt(0)
	s_and_b32 s6, s6, 0xffff
	s_mul_i32 s8, s8, s6
	v_add_u32_e32 v1, s8, v0
	v_lshrrev_b32_e32 v2, 5, v1
	v_cmp_gt_i64_e32 vcc, s[16:17], v[2:3]
	s_and_b64 exec, exec, vcc
	s_cbranch_execz .LBB66_31
; %bb.8:
	v_cmp_lt_i64_e64 s[6:7], s[18:19], 1
	s_and_b64 vcc, exec, s[6:7]
	s_cbranch_vccnz .LBB66_31
; %bb.9:
	s_load_dwordx8 s[8:15], s[4:5], 0x38
	v_lshlrev_b32_e32 v2, 3, v2
	v_and_b32_e32 v16, 15, v0
	v_cmp_neq_f64_e32 vcc, 0, v[12:13]
	v_lshrrev_b32_e32 v19, 4, v1
	s_waitcnt lgkmcnt(0)
	global_load_dwordx4 v[2:5], v2, s[8:9]
	s_load_dword s6, s[4:5], 0x0
	s_load_dwordx4 s[20:23], s[4:5], 0x78
	s_load_dwordx2 s[8:9], s[4:5], 0x58
	v_cmp_neq_f64_e64 s[4:5], 0, v[14:15]
	v_bfe_u32 v6, v1, 4, 1
	v_and_b32_e32 v20, -16, v1
	s_or_b64 s[26:27], vcc, s[4:5]
	v_mul_u32_u24_e32 v1, 3, v16
	v_lshrrev_b32_e32 v0, 4, v0
	v_mov_b32_e32 v17, 0xc00
	s_movk_i32 s7, 0x300
	s_cmp_lg_u32 s24, 1
	v_lshlrev_b32_e32 v1, 4, v1
	v_lshl_or_b32 v17, v0, 7, v17
	v_mul_u32_u24_e32 v38, 0x300, v0
	s_cselect_b64 s[28:29], -1, 0
	v_mad_u32_u24 v40, v0, s7, v1
	s_waitcnt lgkmcnt(0)
	s_cmp_eq_u32 s6, 0
	v_mad_u64_u32 v[0:1], s[4:5], v19, s22, 0
	v_mov_b32_e32 v18, v1
	s_cselect_b64 s[4:5], -1, 0
	v_mov_b32_e32 v7, 0
	v_add_co_u32_e32 v41, vcc, s20, v20
	v_cndmask_b32_e64 v1, 0, 1, s[4:5]
	v_mad_u64_u32 v[20:21], s[6:7], v19, s23, v[18:19]
	v_mov_b32_e32 v22, s21
	v_lshlrev_b64 v[18:19], v1, v[6:7]
	v_mov_b32_e32 v1, v20
	v_addc_co_u32_e32 v42, vcc, 0, v22, vcc
	v_lshlrev_b64 v[0:1], 4, v[0:1]
	v_add_co_u32_e32 v43, vcc, s20, v0
	v_addc_co_u32_e32 v44, vcc, v22, v1, vcc
	s_and_b64 s[4:5], s[4:5], exec
	s_mov_b32 s33, 0
	s_mov_b32 s36, s25
	s_mov_b64 s[16:17], 0
	v_lshl_or_b32 v39, v16, 3, v17
	s_cselect_b32 s37, 1, 2
	s_lshl_b64 s[20:21], s[8:9], 4
	s_waitcnt vmcnt(0)
	v_subrev_co_u32_e32 v20, vcc, s25, v2
	v_subbrev_co_u32_e32 v21, vcc, 0, v3, vcc
	v_subrev_co_u32_e32 v22, vcc, s25, v4
	v_subbrev_co_u32_e32 v23, vcc, 0, v5, vcc
	v_cmp_lt_i64_e64 s[4:5], v[2:3], v[4:5]
	s_branch .LBB66_11
.LBB66_10:                              ;   in Loop: Header=BB66_11 Depth=1
	s_or_b64 exec, exec, s[6:7]
	s_add_u32 s16, s16, 16
	s_addc_u32 s17, s17, 0
	v_pk_mov_b32 v[0:1], s[18:19], s[18:19] op_sel:[0,1]
	v_cmp_lt_i64_e32 vcc, s[16:17], v[0:1]
	s_cbranch_vccz .LBB66_31
.LBB66_11:                              ; =>This Loop Header: Depth=1
                                        ;     Child Loop BB66_14 Depth 2
                                        ;       Child Loop BB66_18 Depth 3
	v_pk_mov_b32 v[26:27], 0, 0
	v_or_b32_e64 v25, s17, 0
	v_or_b32_e32 v24, s16, v16
	v_pk_mov_b32 v[28:29], v[26:27], v[26:27] op_sel:[0,1]
	s_and_saveexec_b64 s[24:25], s[4:5]
	s_cbranch_execz .LBB66_20
; %bb.12:                               ;   in Loop: Header=BB66_11 Depth=1
	v_lshlrev_b64 v[0:1], 4, v[24:25]
	v_mov_b32_e32 v2, s15
	v_add_co_u32_e64 v45, s[6:7], s14, v0
	v_pk_mov_b32 v[30:31], 0, 0
	v_cmp_gt_i64_e32 vcc, s[18:19], v[24:25]
	v_addc_co_u32_e64 v46, s[6:7], v2, v1, s[6:7]
	s_mov_b64 s[30:31], 0
	v_pk_mov_b32 v[32:33], v[20:21], v[20:21] op_sel:[0,1]
	v_pk_mov_b32 v[26:27], v[30:31], v[30:31] op_sel:[0,1]
	;; [unrolled: 1-line block ×3, first 2 shown]
	s_branch .LBB66_14
.LBB66_13:                              ;   in Loop: Header=BB66_14 Depth=2
	s_or_b64 exec, exec, s[34:35]
	v_add_co_u32_e64 v32, s[6:7], 16, v32
	v_addc_co_u32_e64 v33, s[6:7], 0, v33, s[6:7]
	v_cmp_ge_i64_e64 s[6:7], v[32:33], v[22:23]
	s_or_b64 s[30:31], s[6:7], s[30:31]
	s_andn2_b64 exec, exec, s[30:31]
	s_cbranch_execz .LBB66_19
.LBB66_14:                              ;   Parent Loop BB66_11 Depth=1
                                        ; =>  This Loop Header: Depth=2
                                        ;       Child Loop BB66_18 Depth 3
	v_add_co_u32_e64 v36, s[6:7], v32, v16
	v_addc_co_u32_e64 v37, s[6:7], 0, v33, s[6:7]
	v_cmp_lt_i64_e64 s[6:7], v[36:37], v[22:23]
	v_pk_mov_b32 v[34:35], v[30:31], v[30:31] op_sel:[0,1]
	v_pk_mov_b32 v[4:5], v[30:31], v[30:31] op_sel:[0,1]
	;; [unrolled: 1-line block ×5, first 2 shown]
	s_and_saveexec_b64 s[34:35], s[6:7]
	s_cbranch_execz .LBB66_16
; %bb.15:                               ;   in Loop: Header=BB66_14 Depth=2
	v_lshlrev_b64 v[0:1], 3, v[36:37]
	v_mov_b32_e32 v2, s11
	v_add_co_u32_e64 v0, s[6:7], s10, v0
	v_addc_co_u32_e64 v1, s[6:7], v2, v1, s[6:7]
	global_load_dwordx2 v[34:35], v[0:1], off
	v_lshlrev_b64 v[0:1], 2, v[36:37]
	v_or_b32_e32 v1, v1, v19
	v_or_b32_e32 v0, v0, v18
	v_lshlrev_b64 v[2:3], 4, v[0:1]
	v_mov_b32_e32 v4, s13
	v_add_co_u32_e64 v36, s[6:7], s12, v2
	v_or_b32_e32 v1, 0, v1
	v_or_b32_e32 v0, s37, v0
	v_addc_co_u32_e64 v37, s[6:7], v4, v3, s[6:7]
	v_lshlrev_b64 v[0:1], 4, v[0:1]
	v_add_co_u32_e64 v48, s[6:7], s12, v0
	v_addc_co_u32_e64 v49, s[6:7], v4, v1, s[6:7]
	global_load_dwordx4 v[4:7], v[36:37], off
	global_load_dwordx4 v[0:3], v[48:49], off
	v_mov_b32_e32 v36, s33
	s_waitcnt vmcnt(2)
	v_subrev_co_u32_e64 v34, s[6:7], s36, v34
	v_subb_co_u32_e64 v35, s[6:7], v35, v36, s[6:7]
	v_lshlrev_b64 v[34:35], 1, v[34:35]
.LBB66_16:                              ;   in Loop: Header=BB66_14 Depth=2
	s_or_b64 exec, exec, s[34:35]
	ds_write_b64 v39, v[34:35]
	s_waitcnt vmcnt(1)
	ds_write_b128 v40, v[4:7]
	s_waitcnt vmcnt(0)
	ds_write_b128 v40, v[0:3] offset:16
	s_waitcnt lgkmcnt(0)
	; wave barrier
	s_waitcnt lgkmcnt(0)
	s_and_saveexec_b64 s[34:35], vcc
	s_cbranch_execz .LBB66_13
; %bb.17:                               ;   in Loop: Header=BB66_14 Depth=2
	s_mov_b32 s38, 0
	v_mov_b32_e32 v0, v38
.LBB66_18:                              ;   Parent Loop BB66_11 Depth=1
                                        ;     Parent Loop BB66_14 Depth=2
                                        ; =>    This Inner Loop Header: Depth=3
	v_add_u32_e32 v1, s38, v17
	ds_read_b128 v[2:5], v1
	v_mov_b32_e32 v47, s21
	s_add_i32 s38, s38, 16
	s_cmpk_lg_i32 s38, 0x80
	s_waitcnt lgkmcnt(0)
	v_mul_lo_u32 v1, v3, s8
	v_mul_lo_u32 v6, v2, s9
	v_mad_u64_u32 v[2:3], s[6:7], v2, s8, 0
	v_add3_u32 v3, v3, v6, v1
	v_mul_lo_u32 v7, v5, s8
	v_mul_lo_u32 v34, v4, s9
	v_mad_u64_u32 v[4:5], s[6:7], v4, s8, 0
	v_lshlrev_b64 v[2:3], 4, v[2:3]
	v_add3_u32 v5, v5, v34, v7
	v_add_co_u32_e64 v6, s[6:7], v45, v2
	v_lshlrev_b64 v[4:5], 4, v[4:5]
	v_addc_co_u32_e64 v7, s[6:7], v46, v3, s[6:7]
	v_add_co_u32_e64 v52, s[6:7], v45, v4
	v_addc_co_u32_e64 v53, s[6:7], v46, v5, s[6:7]
	v_add_co_u32_e64 v48, s[6:7], s20, v6
	v_addc_co_u32_e64 v49, s[6:7], v7, v47, s[6:7]
	global_load_dwordx4 v[2:5], v[6:7], off
	global_load_dwordx4 v[34:37], v[52:53], off
	v_add_co_u32_e64 v6, s[6:7], s20, v52
	global_load_dwordx4 v[48:51], v[48:49], off
	v_addc_co_u32_e64 v7, s[6:7], v53, v47, s[6:7]
	global_load_dwordx4 v[52:55], v[6:7], off
	ds_read_b128 v[56:59], v0
	ds_read_b128 v[60:63], v0 offset:16
	ds_read_b128 v[64:67], v0 offset:48
	;; [unrolled: 1-line block ×3, first 2 shown]
	v_add_u32_e32 v0, 0x60, v0
	s_waitcnt vmcnt(3) lgkmcnt(3)
	v_fmac_f64_e32 v[28:29], v[56:57], v[2:3]
	v_fmac_f64_e32 v[26:27], v[58:59], v[2:3]
	v_fma_f64 v[2:3], -v[58:59], v[4:5], v[28:29]
	v_fmac_f64_e32 v[26:27], v[56:57], v[4:5]
	s_waitcnt vmcnt(1) lgkmcnt(2)
	v_fmac_f64_e32 v[2:3], v[60:61], v[48:49]
	v_fmac_f64_e32 v[26:27], v[62:63], v[48:49]
	v_fma_f64 v[2:3], -v[62:63], v[50:51], v[2:3]
	v_fmac_f64_e32 v[26:27], v[60:61], v[50:51]
	s_waitcnt lgkmcnt(1)
	v_fmac_f64_e32 v[2:3], v[64:65], v[34:35]
	v_fmac_f64_e32 v[26:27], v[66:67], v[34:35]
	v_fma_f64 v[2:3], -v[66:67], v[36:37], v[2:3]
	v_fmac_f64_e32 v[26:27], v[64:65], v[36:37]
	s_waitcnt vmcnt(0) lgkmcnt(0)
	v_fmac_f64_e32 v[2:3], v[68:69], v[52:53]
	v_fmac_f64_e32 v[26:27], v[70:71], v[52:53]
	v_fma_f64 v[28:29], -v[70:71], v[54:55], v[2:3]
	v_fmac_f64_e32 v[26:27], v[68:69], v[54:55]
	s_cbranch_scc1 .LBB66_18
	s_branch .LBB66_13
.LBB66_19:                              ;   in Loop: Header=BB66_11 Depth=1
	s_or_b64 exec, exec, s[30:31]
.LBB66_20:                              ;   in Loop: Header=BB66_11 Depth=1
	s_or_b64 exec, exec, s[24:25]
	v_cmp_gt_i64_e32 vcc, s[18:19], v[24:25]
	s_and_saveexec_b64 s[6:7], vcc
	s_cbranch_execz .LBB66_10
; %bb.21:                               ;   in Loop: Header=BB66_11 Depth=1
	s_and_saveexec_b64 s[24:25], s[26:27]
	s_xor_b64 s[24:25], exec, s[24:25]
	s_cbranch_execz .LBB66_26
; %bb.22:                               ;   in Loop: Header=BB66_11 Depth=1
	s_mov_b64 s[30:31], -1
	s_and_b64 vcc, exec, s[28:29]
	s_cbranch_vccz .LBB66_24
; %bb.23:                               ;   in Loop: Header=BB66_11 Depth=1
	v_lshlrev_b64 v[0:1], 4, v[24:25]
	v_add_co_u32_e32 v30, vcc, v43, v0
	v_addc_co_u32_e32 v31, vcc, v44, v1, vcc
	global_load_dwordx4 v[0:3], v[30:31], off
	v_mul_f64 v[4:5], v[26:27], -v[10:11]
	v_mul_f64 v[6:7], v[8:9], v[26:27]
	v_fmac_f64_e32 v[4:5], v[8:9], v[28:29]
	v_fmac_f64_e32 v[6:7], v[10:11], v[28:29]
	s_mov_b64 s[30:31], 0
	s_waitcnt vmcnt(0)
	v_fmac_f64_e32 v[4:5], v[12:13], v[0:1]
	v_fmac_f64_e32 v[6:7], v[14:15], v[0:1]
	v_fma_f64 v[4:5], -v[14:15], v[2:3], v[4:5]
	v_fmac_f64_e32 v[6:7], v[12:13], v[2:3]
	global_store_dwordx4 v[30:31], v[4:7], off
.LBB66_24:                              ;   in Loop: Header=BB66_11 Depth=1
	s_andn2_b64 vcc, exec, s[30:31]
	s_cbranch_vccnz .LBB66_26
; %bb.25:                               ;   in Loop: Header=BB66_11 Depth=1
	v_mul_lo_u32 v2, v25, s22
	v_mul_lo_u32 v3, v24, s23
	v_mad_u64_u32 v[0:1], s[30:31], v24, s22, 0
	v_add3_u32 v1, v1, v3, v2
	v_lshlrev_b64 v[0:1], 4, v[0:1]
	v_add_co_u32_e32 v24, vcc, v41, v0
	v_addc_co_u32_e32 v25, vcc, v42, v1, vcc
	global_load_dwordx4 v[0:3], v[24:25], off
	v_mul_f64 v[4:5], v[26:27], -v[10:11]
	v_mul_f64 v[6:7], v[8:9], v[26:27]
	v_fmac_f64_e32 v[4:5], v[8:9], v[28:29]
	v_fmac_f64_e32 v[6:7], v[10:11], v[28:29]
                                        ; implicit-def: $vgpr26_vgpr27
                                        ; implicit-def: $vgpr28_vgpr29
	s_waitcnt vmcnt(0)
	v_fmac_f64_e32 v[4:5], v[12:13], v[0:1]
	v_fmac_f64_e32 v[6:7], v[14:15], v[0:1]
	v_fma_f64 v[4:5], -v[14:15], v[2:3], v[4:5]
	v_fmac_f64_e32 v[6:7], v[12:13], v[2:3]
	global_store_dwordx4 v[24:25], v[4:7], off
                                        ; implicit-def: $vgpr24_vgpr25
.LBB66_26:                              ;   in Loop: Header=BB66_11 Depth=1
	s_andn2_saveexec_b64 s[24:25], s[24:25]
	s_cbranch_execz .LBB66_10
; %bb.27:                               ;   in Loop: Header=BB66_11 Depth=1
	v_mul_f64 v[0:1], v[26:27], -v[10:11]
	v_mul_f64 v[2:3], v[8:9], v[26:27]
	v_fmac_f64_e32 v[0:1], v[8:9], v[28:29]
	v_fmac_f64_e32 v[2:3], v[10:11], v[28:29]
	s_mov_b64 s[24:25], -1
	s_and_b64 vcc, exec, s[28:29]
	s_cbranch_vccz .LBB66_29
; %bb.28:                               ;   in Loop: Header=BB66_11 Depth=1
	v_lshlrev_b64 v[4:5], 4, v[24:25]
	v_add_co_u32_e32 v4, vcc, v43, v4
	v_addc_co_u32_e32 v5, vcc, v44, v5, vcc
	global_store_dwordx4 v[4:5], v[0:3], off
	s_mov_b64 s[24:25], 0
.LBB66_29:                              ;   in Loop: Header=BB66_11 Depth=1
	s_andn2_b64 vcc, exec, s[24:25]
	s_cbranch_vccnz .LBB66_10
; %bb.30:                               ;   in Loop: Header=BB66_11 Depth=1
	v_mul_lo_u32 v6, v25, s22
	v_mul_lo_u32 v7, v24, s23
	v_mad_u64_u32 v[4:5], s[24:25], v24, s22, 0
	v_add3_u32 v5, v5, v7, v6
	v_lshlrev_b64 v[4:5], 4, v[4:5]
	v_add_co_u32_e32 v4, vcc, v41, v4
	v_addc_co_u32_e32 v5, vcc, v42, v5, vcc
	global_store_dwordx4 v[4:5], v[0:3], off
	s_branch .LBB66_10
.LBB66_31:
	s_endpgm
	.section	.rodata,"a",@progbits
	.p2align	6, 0x0
	.amdhsa_kernel _ZN9rocsparseL29bsrmmnt_small_blockdim_kernelILj64ELj16ELj2Ell21rocsparse_complex_numIdES2_S2_S2_EEv20rocsparse_direction_T3_S4_llNS_24const_host_device_scalarIT7_EEPKT2_PKS4_PKT4_PKT5_llS7_PT6_ll16rocsparse_order_21rocsparse_index_base_b
		.amdhsa_group_segment_fixed_size 3584
		.amdhsa_private_segment_fixed_size 24
		.amdhsa_kernarg_size 416
		.amdhsa_user_sgpr_count 8
		.amdhsa_user_sgpr_private_segment_buffer 1
		.amdhsa_user_sgpr_dispatch_ptr 0
		.amdhsa_user_sgpr_queue_ptr 0
		.amdhsa_user_sgpr_kernarg_segment_ptr 1
		.amdhsa_user_sgpr_dispatch_id 0
		.amdhsa_user_sgpr_flat_scratch_init 1
		.amdhsa_user_sgpr_kernarg_preload_length 0
		.amdhsa_user_sgpr_kernarg_preload_offset 0
		.amdhsa_user_sgpr_private_segment_size 0
		.amdhsa_uses_dynamic_stack 0
		.amdhsa_system_sgpr_private_segment_wavefront_offset 1
		.amdhsa_system_sgpr_workgroup_id_x 1
		.amdhsa_system_sgpr_workgroup_id_y 0
		.amdhsa_system_sgpr_workgroup_id_z 0
		.amdhsa_system_sgpr_workgroup_info 0
		.amdhsa_system_vgpr_workitem_id 0
		.amdhsa_next_free_vgpr 72
		.amdhsa_next_free_sgpr 39
		.amdhsa_accum_offset 72
		.amdhsa_reserve_vcc 1
		.amdhsa_reserve_flat_scratch 1
		.amdhsa_float_round_mode_32 0
		.amdhsa_float_round_mode_16_64 0
		.amdhsa_float_denorm_mode_32 3
		.amdhsa_float_denorm_mode_16_64 3
		.amdhsa_dx10_clamp 1
		.amdhsa_ieee_mode 1
		.amdhsa_fp16_overflow 0
		.amdhsa_tg_split 0
		.amdhsa_exception_fp_ieee_invalid_op 0
		.amdhsa_exception_fp_denorm_src 0
		.amdhsa_exception_fp_ieee_div_zero 0
		.amdhsa_exception_fp_ieee_overflow 0
		.amdhsa_exception_fp_ieee_underflow 0
		.amdhsa_exception_fp_ieee_inexact 0
		.amdhsa_exception_int_div_zero 0
	.end_amdhsa_kernel
	.section	.text._ZN9rocsparseL29bsrmmnt_small_blockdim_kernelILj64ELj16ELj2Ell21rocsparse_complex_numIdES2_S2_S2_EEv20rocsparse_direction_T3_S4_llNS_24const_host_device_scalarIT7_EEPKT2_PKS4_PKT4_PKT5_llS7_PT6_ll16rocsparse_order_21rocsparse_index_base_b,"axG",@progbits,_ZN9rocsparseL29bsrmmnt_small_blockdim_kernelILj64ELj16ELj2Ell21rocsparse_complex_numIdES2_S2_S2_EEv20rocsparse_direction_T3_S4_llNS_24const_host_device_scalarIT7_EEPKT2_PKS4_PKT4_PKT5_llS7_PT6_ll16rocsparse_order_21rocsparse_index_base_b,comdat
.Lfunc_end66:
	.size	_ZN9rocsparseL29bsrmmnt_small_blockdim_kernelILj64ELj16ELj2Ell21rocsparse_complex_numIdES2_S2_S2_EEv20rocsparse_direction_T3_S4_llNS_24const_host_device_scalarIT7_EEPKT2_PKS4_PKT4_PKT5_llS7_PT6_ll16rocsparse_order_21rocsparse_index_base_b, .Lfunc_end66-_ZN9rocsparseL29bsrmmnt_small_blockdim_kernelILj64ELj16ELj2Ell21rocsparse_complex_numIdES2_S2_S2_EEv20rocsparse_direction_T3_S4_llNS_24const_host_device_scalarIT7_EEPKT2_PKS4_PKT4_PKT5_llS7_PT6_ll16rocsparse_order_21rocsparse_index_base_b
                                        ; -- End function
	.section	.AMDGPU.csdata,"",@progbits
; Kernel info:
; codeLenInByte = 1864
; NumSgprs: 45
; NumVgprs: 72
; NumAgprs: 0
; TotalNumVgprs: 72
; ScratchSize: 24
; MemoryBound: 1
; FloatMode: 240
; IeeeMode: 1
; LDSByteSize: 3584 bytes/workgroup (compile time only)
; SGPRBlocks: 5
; VGPRBlocks: 8
; NumSGPRsForWavesPerEU: 45
; NumVGPRsForWavesPerEU: 72
; AccumOffset: 72
; Occupancy: 5
; WaveLimiterHint : 1
; COMPUTE_PGM_RSRC2:SCRATCH_EN: 1
; COMPUTE_PGM_RSRC2:USER_SGPR: 8
; COMPUTE_PGM_RSRC2:TRAP_HANDLER: 0
; COMPUTE_PGM_RSRC2:TGID_X_EN: 1
; COMPUTE_PGM_RSRC2:TGID_Y_EN: 0
; COMPUTE_PGM_RSRC2:TGID_Z_EN: 0
; COMPUTE_PGM_RSRC2:TIDIG_COMP_CNT: 0
; COMPUTE_PGM_RSRC3_GFX90A:ACCUM_OFFSET: 17
; COMPUTE_PGM_RSRC3_GFX90A:TG_SPLIT: 0
	.section	.text._ZN9rocsparseL29bsrmmnt_small_blockdim_kernelILj64ELj32ELj2Ell21rocsparse_complex_numIdES2_S2_S2_EEv20rocsparse_direction_T3_S4_llNS_24const_host_device_scalarIT7_EEPKT2_PKS4_PKT4_PKT5_llS7_PT6_ll16rocsparse_order_21rocsparse_index_base_b,"axG",@progbits,_ZN9rocsparseL29bsrmmnt_small_blockdim_kernelILj64ELj32ELj2Ell21rocsparse_complex_numIdES2_S2_S2_EEv20rocsparse_direction_T3_S4_llNS_24const_host_device_scalarIT7_EEPKT2_PKS4_PKT4_PKT5_llS7_PT6_ll16rocsparse_order_21rocsparse_index_base_b,comdat
	.globl	_ZN9rocsparseL29bsrmmnt_small_blockdim_kernelILj64ELj32ELj2Ell21rocsparse_complex_numIdES2_S2_S2_EEv20rocsparse_direction_T3_S4_llNS_24const_host_device_scalarIT7_EEPKT2_PKS4_PKT4_PKT5_llS7_PT6_ll16rocsparse_order_21rocsparse_index_base_b ; -- Begin function _ZN9rocsparseL29bsrmmnt_small_blockdim_kernelILj64ELj32ELj2Ell21rocsparse_complex_numIdES2_S2_S2_EEv20rocsparse_direction_T3_S4_llNS_24const_host_device_scalarIT7_EEPKT2_PKS4_PKT4_PKT5_llS7_PT6_ll16rocsparse_order_21rocsparse_index_base_b
	.p2align	8
	.type	_ZN9rocsparseL29bsrmmnt_small_blockdim_kernelILj64ELj32ELj2Ell21rocsparse_complex_numIdES2_S2_S2_EEv20rocsparse_direction_T3_S4_llNS_24const_host_device_scalarIT7_EEPKT2_PKS4_PKT4_PKT5_llS7_PT6_ll16rocsparse_order_21rocsparse_index_base_b,@function
_ZN9rocsparseL29bsrmmnt_small_blockdim_kernelILj64ELj32ELj2Ell21rocsparse_complex_numIdES2_S2_S2_EEv20rocsparse_direction_T3_S4_llNS_24const_host_device_scalarIT7_EEPKT2_PKS4_PKT4_PKT5_llS7_PT6_ll16rocsparse_order_21rocsparse_index_base_b: ; @_ZN9rocsparseL29bsrmmnt_small_blockdim_kernelILj64ELj32ELj2Ell21rocsparse_complex_numIdES2_S2_S2_EEv20rocsparse_direction_T3_S4_llNS_24const_host_device_scalarIT7_EEPKT2_PKS4_PKT4_PKT5_llS7_PT6_ll16rocsparse_order_21rocsparse_index_base_b
; %bb.0:
	s_add_u32 flat_scratch_lo, s6, s9
	s_load_dwordx4 s[24:27], s[4:5], 0x90
	s_load_dwordx4 s[16:19], s[4:5], 0x28
	s_addc_u32 flat_scratch_hi, s7, 0
	s_add_u32 s0, s0, s9
	s_load_dwordx4 s[12:15], s[4:5], 0x68
	s_addc_u32 s1, s1, 0
	s_waitcnt lgkmcnt(0)
	s_bitcmp1_b32 s26, 0
	v_mov_b32_e32 v1, 0
	v_mov_b32_e32 v3, s16
	s_cselect_b64 s[6:7], -1, 0
	v_cndmask_b32_e64 v2, v3, v1, s[6:7]
	v_mov_b32_e32 v1, s17
	s_mov_b64 s[10:11], src_private_base
	s_and_b64 vcc, s[6:7], exec
	buffer_store_dword v1, off, s[0:3], 0 offset:4
	buffer_store_dword v3, off, s[0:3], 0
	v_mov_b32_e32 v1, s13
	s_cselect_b32 s9, s11, s17
	buffer_store_dword v1, off, s[0:3], 0 offset:12
	v_mov_b32_e32 v1, s12
	buffer_store_dword v1, off, s[0:3], 0 offset:8
	v_mov_b32_e32 v3, s9
	flat_load_dwordx2 v[8:9], v[2:3]
	s_xor_b64 s[20:21], s[6:7], -1
	v_pk_mov_b32 v[10:11], s[18:19], s[18:19] op_sel:[0,1]
	s_cbranch_vccnz .LBB67_2
; %bb.1:
	v_pk_mov_b32 v[2:3], s[16:17], s[16:17] op_sel:[0,1]
	flat_load_dwordx2 v[10:11], v[2:3] offset:8
.LBB67_2:
	s_and_b64 s[16:17], s[6:7], exec
	s_cselect_b32 s9, s11, s13
	v_mov_b32_e32 v1, 8
	v_mov_b32_e32 v2, s12
	v_cndmask_b32_e64 v2, v2, v1, s[6:7]
	v_mov_b32_e32 v3, s9
	flat_load_dwordx2 v[12:13], v[2:3]
	s_andn2_b64 vcc, exec, s[20:21]
	v_pk_mov_b32 v[14:15], s[14:15], s[14:15] op_sel:[0,1]
	s_cbranch_vccnz .LBB67_4
; %bb.3:
	v_pk_mov_b32 v[2:3], s[12:13], s[12:13] op_sel:[0,1]
	flat_load_dwordx2 v[14:15], v[2:3] offset:8
.LBB67_4:
	s_waitcnt vmcnt(0) lgkmcnt(0)
	v_cmp_eq_f64_e32 vcc, 0, v[8:9]
	v_cmp_eq_f64_e64 s[6:7], 0, v[10:11]
	s_and_b64 s[12:13], vcc, s[6:7]
	s_mov_b64 s[6:7], -1
	s_and_saveexec_b64 s[10:11], s[12:13]
; %bb.5:
	v_cmp_neq_f64_e32 vcc, 1.0, v[12:13]
	v_cmp_neq_f64_e64 s[6:7], 0, v[14:15]
	s_or_b64 s[6:7], vcc, s[6:7]
	s_orn2_b64 s[6:7], s[6:7], exec
; %bb.6:
	s_or_b64 exec, exec, s[10:11]
	s_and_saveexec_b64 s[10:11], s[6:7]
	s_cbranch_execz .LBB67_31
; %bb.7:
	s_load_dword s6, s[4:5], 0xac
	s_load_dwordx4 s[16:19], s[4:5], 0x8
	v_mov_b32_e32 v3, 0
	s_waitcnt lgkmcnt(0)
	s_and_b32 s6, s6, 0xffff
	s_mul_i32 s8, s8, s6
	v_add_u32_e32 v1, s8, v0
	v_lshrrev_b32_e32 v2, 6, v1
	v_cmp_gt_i64_e32 vcc, s[16:17], v[2:3]
	s_and_b64 exec, exec, vcc
	s_cbranch_execz .LBB67_31
; %bb.8:
	v_cmp_lt_i64_e64 s[6:7], s[18:19], 1
	s_and_b64 vcc, exec, s[6:7]
	s_cbranch_vccnz .LBB67_31
; %bb.9:
	s_load_dwordx8 s[8:15], s[4:5], 0x38
	v_lshlrev_b32_e32 v2, 3, v2
	v_lshrrev_b32_e32 v19, 5, v1
	v_bfe_u32 v6, v1, 5, 1
	v_and_b32_e32 v16, 31, v0
	s_waitcnt lgkmcnt(0)
	global_load_dwordx4 v[2:5], v2, s[8:9]
	s_load_dword s6, s[4:5], 0x0
	s_load_dwordx4 s[20:23], s[4:5], 0x78
	s_load_dwordx2 s[8:9], s[4:5], 0x58
	v_lshrrev_b32_e32 v0, 5, v0
	v_mov_b32_e32 v1, 0xc00
	v_cmp_neq_f64_e32 vcc, 0, v[12:13]
	v_cmp_neq_f64_e64 s[4:5], 0, v[14:15]
	v_lshl_or_b32 v17, v0, 8, v1
	s_or_b64 s[26:27], vcc, s[4:5]
	v_mul_u32_u24_e32 v1, 3, v16
	s_movk_i32 s7, 0x600
	s_cmp_lg_u32 s24, 1
	v_lshlrev_b32_e32 v1, 4, v1
	v_mul_u32_u24_e32 v38, 0x600, v0
	s_cselect_b64 s[28:29], -1, 0
	v_mad_u32_u24 v40, v0, s7, v1
	s_waitcnt lgkmcnt(0)
	s_cmp_eq_u32 s6, 0
	v_mad_u64_u32 v[0:1], s[4:5], v19, s22, 0
	v_lshlrev_b32_e32 v20, 4, v19
	v_mov_b32_e32 v18, v1
	s_cselect_b64 s[4:5], -1, 0
	v_mov_b32_e32 v7, 0
	v_add_co_u32_e32 v41, vcc, s20, v20
	v_cndmask_b32_e64 v1, 0, 1, s[4:5]
	v_mad_u64_u32 v[20:21], s[6:7], v19, s23, v[18:19]
	v_mov_b32_e32 v22, s21
	v_lshlrev_b64 v[18:19], v1, v[6:7]
	v_mov_b32_e32 v1, v20
	v_addc_co_u32_e32 v42, vcc, 0, v22, vcc
	v_lshlrev_b64 v[0:1], 4, v[0:1]
	v_add_co_u32_e32 v43, vcc, s20, v0
	v_addc_co_u32_e32 v44, vcc, v22, v1, vcc
	s_and_b64 s[4:5], s[4:5], exec
	s_mov_b32 s33, 0
	s_mov_b32 s36, s25
	s_mov_b64 s[16:17], 0
	v_lshl_or_b32 v39, v16, 3, v17
	s_cselect_b32 s37, 1, 2
	s_lshl_b64 s[20:21], s[8:9], 4
	s_waitcnt vmcnt(0)
	v_subrev_co_u32_e32 v20, vcc, s25, v2
	v_subbrev_co_u32_e32 v21, vcc, 0, v3, vcc
	v_subrev_co_u32_e32 v22, vcc, s25, v4
	v_subbrev_co_u32_e32 v23, vcc, 0, v5, vcc
	v_cmp_lt_i64_e64 s[4:5], v[2:3], v[4:5]
	s_branch .LBB67_11
.LBB67_10:                              ;   in Loop: Header=BB67_11 Depth=1
	s_or_b64 exec, exec, s[6:7]
	s_add_u32 s16, s16, 32
	s_addc_u32 s17, s17, 0
	v_pk_mov_b32 v[0:1], s[18:19], s[18:19] op_sel:[0,1]
	v_cmp_lt_i64_e32 vcc, s[16:17], v[0:1]
	s_cbranch_vccz .LBB67_31
.LBB67_11:                              ; =>This Loop Header: Depth=1
                                        ;     Child Loop BB67_14 Depth 2
                                        ;       Child Loop BB67_18 Depth 3
	v_pk_mov_b32 v[26:27], 0, 0
	v_or_b32_e64 v25, s17, 0
	v_or_b32_e32 v24, s16, v16
	v_pk_mov_b32 v[28:29], v[26:27], v[26:27] op_sel:[0,1]
	s_and_saveexec_b64 s[24:25], s[4:5]
	s_cbranch_execz .LBB67_20
; %bb.12:                               ;   in Loop: Header=BB67_11 Depth=1
	v_lshlrev_b64 v[0:1], 4, v[24:25]
	v_mov_b32_e32 v2, s15
	v_add_co_u32_e64 v45, s[6:7], s14, v0
	v_pk_mov_b32 v[30:31], 0, 0
	v_cmp_gt_i64_e32 vcc, s[18:19], v[24:25]
	v_addc_co_u32_e64 v46, s[6:7], v2, v1, s[6:7]
	s_mov_b64 s[30:31], 0
	v_pk_mov_b32 v[32:33], v[20:21], v[20:21] op_sel:[0,1]
	v_pk_mov_b32 v[26:27], v[30:31], v[30:31] op_sel:[0,1]
	;; [unrolled: 1-line block ×3, first 2 shown]
	s_branch .LBB67_14
.LBB67_13:                              ;   in Loop: Header=BB67_14 Depth=2
	s_or_b64 exec, exec, s[34:35]
	v_add_co_u32_e64 v32, s[6:7], 32, v32
	v_addc_co_u32_e64 v33, s[6:7], 0, v33, s[6:7]
	v_cmp_ge_i64_e64 s[6:7], v[32:33], v[22:23]
	s_or_b64 s[30:31], s[6:7], s[30:31]
	s_andn2_b64 exec, exec, s[30:31]
	s_cbranch_execz .LBB67_19
.LBB67_14:                              ;   Parent Loop BB67_11 Depth=1
                                        ; =>  This Loop Header: Depth=2
                                        ;       Child Loop BB67_18 Depth 3
	v_add_co_u32_e64 v36, s[6:7], v32, v16
	v_addc_co_u32_e64 v37, s[6:7], 0, v33, s[6:7]
	v_cmp_lt_i64_e64 s[6:7], v[36:37], v[22:23]
	v_pk_mov_b32 v[34:35], v[30:31], v[30:31] op_sel:[0,1]
	v_pk_mov_b32 v[4:5], v[30:31], v[30:31] op_sel:[0,1]
	;; [unrolled: 1-line block ×5, first 2 shown]
	s_and_saveexec_b64 s[34:35], s[6:7]
	s_cbranch_execz .LBB67_16
; %bb.15:                               ;   in Loop: Header=BB67_14 Depth=2
	v_lshlrev_b64 v[0:1], 3, v[36:37]
	v_mov_b32_e32 v2, s11
	v_add_co_u32_e64 v0, s[6:7], s10, v0
	v_addc_co_u32_e64 v1, s[6:7], v2, v1, s[6:7]
	global_load_dwordx2 v[34:35], v[0:1], off
	v_lshlrev_b64 v[0:1], 2, v[36:37]
	v_or_b32_e32 v1, v1, v19
	v_or_b32_e32 v0, v0, v18
	v_lshlrev_b64 v[2:3], 4, v[0:1]
	v_mov_b32_e32 v4, s13
	v_add_co_u32_e64 v36, s[6:7], s12, v2
	v_or_b32_e32 v1, 0, v1
	v_or_b32_e32 v0, s37, v0
	v_addc_co_u32_e64 v37, s[6:7], v4, v3, s[6:7]
	v_lshlrev_b64 v[0:1], 4, v[0:1]
	v_add_co_u32_e64 v48, s[6:7], s12, v0
	v_addc_co_u32_e64 v49, s[6:7], v4, v1, s[6:7]
	global_load_dwordx4 v[4:7], v[36:37], off
	global_load_dwordx4 v[0:3], v[48:49], off
	v_mov_b32_e32 v36, s33
	s_waitcnt vmcnt(2)
	v_subrev_co_u32_e64 v34, s[6:7], s36, v34
	v_subb_co_u32_e64 v35, s[6:7], v35, v36, s[6:7]
	v_lshlrev_b64 v[34:35], 1, v[34:35]
.LBB67_16:                              ;   in Loop: Header=BB67_14 Depth=2
	s_or_b64 exec, exec, s[34:35]
	ds_write_b64 v39, v[34:35]
	s_waitcnt vmcnt(1)
	ds_write_b128 v40, v[4:7]
	s_waitcnt vmcnt(0)
	ds_write_b128 v40, v[0:3] offset:16
	s_waitcnt lgkmcnt(0)
	; wave barrier
	s_waitcnt lgkmcnt(0)
	s_and_saveexec_b64 s[34:35], vcc
	s_cbranch_execz .LBB67_13
; %bb.17:                               ;   in Loop: Header=BB67_14 Depth=2
	s_mov_b32 s38, 0
	v_mov_b32_e32 v0, v38
.LBB67_18:                              ;   Parent Loop BB67_11 Depth=1
                                        ;     Parent Loop BB67_14 Depth=2
                                        ; =>    This Inner Loop Header: Depth=3
	v_add_u32_e32 v1, s38, v17
	ds_read_b128 v[2:5], v1
	v_mov_b32_e32 v47, s21
	s_add_i32 s38, s38, 16
	s_cmpk_lg_i32 s38, 0x100
	s_waitcnt lgkmcnt(0)
	v_mul_lo_u32 v1, v3, s8
	v_mul_lo_u32 v6, v2, s9
	v_mad_u64_u32 v[2:3], s[6:7], v2, s8, 0
	v_add3_u32 v3, v3, v6, v1
	v_mul_lo_u32 v7, v5, s8
	v_mul_lo_u32 v34, v4, s9
	v_mad_u64_u32 v[4:5], s[6:7], v4, s8, 0
	v_lshlrev_b64 v[2:3], 4, v[2:3]
	v_add3_u32 v5, v5, v34, v7
	v_add_co_u32_e64 v6, s[6:7], v45, v2
	v_lshlrev_b64 v[4:5], 4, v[4:5]
	v_addc_co_u32_e64 v7, s[6:7], v46, v3, s[6:7]
	v_add_co_u32_e64 v52, s[6:7], v45, v4
	v_addc_co_u32_e64 v53, s[6:7], v46, v5, s[6:7]
	v_add_co_u32_e64 v48, s[6:7], s20, v6
	v_addc_co_u32_e64 v49, s[6:7], v7, v47, s[6:7]
	global_load_dwordx4 v[2:5], v[6:7], off
	global_load_dwordx4 v[34:37], v[52:53], off
	v_add_co_u32_e64 v6, s[6:7], s20, v52
	global_load_dwordx4 v[48:51], v[48:49], off
	v_addc_co_u32_e64 v7, s[6:7], v53, v47, s[6:7]
	global_load_dwordx4 v[52:55], v[6:7], off
	ds_read_b128 v[56:59], v0
	ds_read_b128 v[60:63], v0 offset:16
	ds_read_b128 v[64:67], v0 offset:48
	;; [unrolled: 1-line block ×3, first 2 shown]
	v_add_u32_e32 v0, 0x60, v0
	s_waitcnt vmcnt(3) lgkmcnt(3)
	v_fmac_f64_e32 v[28:29], v[56:57], v[2:3]
	v_fmac_f64_e32 v[26:27], v[58:59], v[2:3]
	v_fma_f64 v[2:3], -v[58:59], v[4:5], v[28:29]
	v_fmac_f64_e32 v[26:27], v[56:57], v[4:5]
	s_waitcnt vmcnt(1) lgkmcnt(2)
	v_fmac_f64_e32 v[2:3], v[60:61], v[48:49]
	v_fmac_f64_e32 v[26:27], v[62:63], v[48:49]
	v_fma_f64 v[2:3], -v[62:63], v[50:51], v[2:3]
	v_fmac_f64_e32 v[26:27], v[60:61], v[50:51]
	s_waitcnt lgkmcnt(1)
	v_fmac_f64_e32 v[2:3], v[64:65], v[34:35]
	v_fmac_f64_e32 v[26:27], v[66:67], v[34:35]
	v_fma_f64 v[2:3], -v[66:67], v[36:37], v[2:3]
	v_fmac_f64_e32 v[26:27], v[64:65], v[36:37]
	s_waitcnt vmcnt(0) lgkmcnt(0)
	v_fmac_f64_e32 v[2:3], v[68:69], v[52:53]
	v_fmac_f64_e32 v[26:27], v[70:71], v[52:53]
	v_fma_f64 v[28:29], -v[70:71], v[54:55], v[2:3]
	v_fmac_f64_e32 v[26:27], v[68:69], v[54:55]
	s_cbranch_scc1 .LBB67_18
	s_branch .LBB67_13
.LBB67_19:                              ;   in Loop: Header=BB67_11 Depth=1
	s_or_b64 exec, exec, s[30:31]
.LBB67_20:                              ;   in Loop: Header=BB67_11 Depth=1
	s_or_b64 exec, exec, s[24:25]
	v_cmp_gt_i64_e32 vcc, s[18:19], v[24:25]
	s_and_saveexec_b64 s[6:7], vcc
	s_cbranch_execz .LBB67_10
; %bb.21:                               ;   in Loop: Header=BB67_11 Depth=1
	s_and_saveexec_b64 s[24:25], s[26:27]
	s_xor_b64 s[24:25], exec, s[24:25]
	s_cbranch_execz .LBB67_26
; %bb.22:                               ;   in Loop: Header=BB67_11 Depth=1
	s_mov_b64 s[30:31], -1
	s_and_b64 vcc, exec, s[28:29]
	s_cbranch_vccz .LBB67_24
; %bb.23:                               ;   in Loop: Header=BB67_11 Depth=1
	v_lshlrev_b64 v[0:1], 4, v[24:25]
	v_add_co_u32_e32 v30, vcc, v43, v0
	v_addc_co_u32_e32 v31, vcc, v44, v1, vcc
	global_load_dwordx4 v[0:3], v[30:31], off
	v_mul_f64 v[4:5], v[26:27], -v[10:11]
	v_mul_f64 v[6:7], v[8:9], v[26:27]
	v_fmac_f64_e32 v[4:5], v[8:9], v[28:29]
	v_fmac_f64_e32 v[6:7], v[10:11], v[28:29]
	s_mov_b64 s[30:31], 0
	s_waitcnt vmcnt(0)
	v_fmac_f64_e32 v[4:5], v[12:13], v[0:1]
	v_fmac_f64_e32 v[6:7], v[14:15], v[0:1]
	v_fma_f64 v[4:5], -v[14:15], v[2:3], v[4:5]
	v_fmac_f64_e32 v[6:7], v[12:13], v[2:3]
	global_store_dwordx4 v[30:31], v[4:7], off
.LBB67_24:                              ;   in Loop: Header=BB67_11 Depth=1
	s_andn2_b64 vcc, exec, s[30:31]
	s_cbranch_vccnz .LBB67_26
; %bb.25:                               ;   in Loop: Header=BB67_11 Depth=1
	v_mul_lo_u32 v2, v25, s22
	v_mul_lo_u32 v3, v24, s23
	v_mad_u64_u32 v[0:1], s[30:31], v24, s22, 0
	v_add3_u32 v1, v1, v3, v2
	v_lshlrev_b64 v[0:1], 4, v[0:1]
	v_add_co_u32_e32 v24, vcc, v41, v0
	v_addc_co_u32_e32 v25, vcc, v42, v1, vcc
	global_load_dwordx4 v[0:3], v[24:25], off
	v_mul_f64 v[4:5], v[26:27], -v[10:11]
	v_mul_f64 v[6:7], v[8:9], v[26:27]
	v_fmac_f64_e32 v[4:5], v[8:9], v[28:29]
	v_fmac_f64_e32 v[6:7], v[10:11], v[28:29]
                                        ; implicit-def: $vgpr26_vgpr27
                                        ; implicit-def: $vgpr28_vgpr29
	s_waitcnt vmcnt(0)
	v_fmac_f64_e32 v[4:5], v[12:13], v[0:1]
	v_fmac_f64_e32 v[6:7], v[14:15], v[0:1]
	v_fma_f64 v[4:5], -v[14:15], v[2:3], v[4:5]
	v_fmac_f64_e32 v[6:7], v[12:13], v[2:3]
	global_store_dwordx4 v[24:25], v[4:7], off
                                        ; implicit-def: $vgpr24_vgpr25
.LBB67_26:                              ;   in Loop: Header=BB67_11 Depth=1
	s_andn2_saveexec_b64 s[24:25], s[24:25]
	s_cbranch_execz .LBB67_10
; %bb.27:                               ;   in Loop: Header=BB67_11 Depth=1
	v_mul_f64 v[0:1], v[26:27], -v[10:11]
	v_mul_f64 v[2:3], v[8:9], v[26:27]
	v_fmac_f64_e32 v[0:1], v[8:9], v[28:29]
	v_fmac_f64_e32 v[2:3], v[10:11], v[28:29]
	s_mov_b64 s[24:25], -1
	s_and_b64 vcc, exec, s[28:29]
	s_cbranch_vccz .LBB67_29
; %bb.28:                               ;   in Loop: Header=BB67_11 Depth=1
	v_lshlrev_b64 v[4:5], 4, v[24:25]
	v_add_co_u32_e32 v4, vcc, v43, v4
	v_addc_co_u32_e32 v5, vcc, v44, v5, vcc
	global_store_dwordx4 v[4:5], v[0:3], off
	s_mov_b64 s[24:25], 0
.LBB67_29:                              ;   in Loop: Header=BB67_11 Depth=1
	s_andn2_b64 vcc, exec, s[24:25]
	s_cbranch_vccnz .LBB67_10
; %bb.30:                               ;   in Loop: Header=BB67_11 Depth=1
	v_mul_lo_u32 v6, v25, s22
	v_mul_lo_u32 v7, v24, s23
	v_mad_u64_u32 v[4:5], s[24:25], v24, s22, 0
	v_add3_u32 v5, v5, v7, v6
	v_lshlrev_b64 v[4:5], 4, v[4:5]
	v_add_co_u32_e32 v4, vcc, v41, v4
	v_addc_co_u32_e32 v5, vcc, v42, v5, vcc
	global_store_dwordx4 v[4:5], v[0:3], off
	s_branch .LBB67_10
.LBB67_31:
	s_endpgm
	.section	.rodata,"a",@progbits
	.p2align	6, 0x0
	.amdhsa_kernel _ZN9rocsparseL29bsrmmnt_small_blockdim_kernelILj64ELj32ELj2Ell21rocsparse_complex_numIdES2_S2_S2_EEv20rocsparse_direction_T3_S4_llNS_24const_host_device_scalarIT7_EEPKT2_PKS4_PKT4_PKT5_llS7_PT6_ll16rocsparse_order_21rocsparse_index_base_b
		.amdhsa_group_segment_fixed_size 3584
		.amdhsa_private_segment_fixed_size 24
		.amdhsa_kernarg_size 416
		.amdhsa_user_sgpr_count 8
		.amdhsa_user_sgpr_private_segment_buffer 1
		.amdhsa_user_sgpr_dispatch_ptr 0
		.amdhsa_user_sgpr_queue_ptr 0
		.amdhsa_user_sgpr_kernarg_segment_ptr 1
		.amdhsa_user_sgpr_dispatch_id 0
		.amdhsa_user_sgpr_flat_scratch_init 1
		.amdhsa_user_sgpr_kernarg_preload_length 0
		.amdhsa_user_sgpr_kernarg_preload_offset 0
		.amdhsa_user_sgpr_private_segment_size 0
		.amdhsa_uses_dynamic_stack 0
		.amdhsa_system_sgpr_private_segment_wavefront_offset 1
		.amdhsa_system_sgpr_workgroup_id_x 1
		.amdhsa_system_sgpr_workgroup_id_y 0
		.amdhsa_system_sgpr_workgroup_id_z 0
		.amdhsa_system_sgpr_workgroup_info 0
		.amdhsa_system_vgpr_workitem_id 0
		.amdhsa_next_free_vgpr 72
		.amdhsa_next_free_sgpr 39
		.amdhsa_accum_offset 72
		.amdhsa_reserve_vcc 1
		.amdhsa_reserve_flat_scratch 1
		.amdhsa_float_round_mode_32 0
		.amdhsa_float_round_mode_16_64 0
		.amdhsa_float_denorm_mode_32 3
		.amdhsa_float_denorm_mode_16_64 3
		.amdhsa_dx10_clamp 1
		.amdhsa_ieee_mode 1
		.amdhsa_fp16_overflow 0
		.amdhsa_tg_split 0
		.amdhsa_exception_fp_ieee_invalid_op 0
		.amdhsa_exception_fp_denorm_src 0
		.amdhsa_exception_fp_ieee_div_zero 0
		.amdhsa_exception_fp_ieee_overflow 0
		.amdhsa_exception_fp_ieee_underflow 0
		.amdhsa_exception_fp_ieee_inexact 0
		.amdhsa_exception_int_div_zero 0
	.end_amdhsa_kernel
	.section	.text._ZN9rocsparseL29bsrmmnt_small_blockdim_kernelILj64ELj32ELj2Ell21rocsparse_complex_numIdES2_S2_S2_EEv20rocsparse_direction_T3_S4_llNS_24const_host_device_scalarIT7_EEPKT2_PKS4_PKT4_PKT5_llS7_PT6_ll16rocsparse_order_21rocsparse_index_base_b,"axG",@progbits,_ZN9rocsparseL29bsrmmnt_small_blockdim_kernelILj64ELj32ELj2Ell21rocsparse_complex_numIdES2_S2_S2_EEv20rocsparse_direction_T3_S4_llNS_24const_host_device_scalarIT7_EEPKT2_PKS4_PKT4_PKT5_llS7_PT6_ll16rocsparse_order_21rocsparse_index_base_b,comdat
.Lfunc_end67:
	.size	_ZN9rocsparseL29bsrmmnt_small_blockdim_kernelILj64ELj32ELj2Ell21rocsparse_complex_numIdES2_S2_S2_EEv20rocsparse_direction_T3_S4_llNS_24const_host_device_scalarIT7_EEPKT2_PKS4_PKT4_PKT5_llS7_PT6_ll16rocsparse_order_21rocsparse_index_base_b, .Lfunc_end67-_ZN9rocsparseL29bsrmmnt_small_blockdim_kernelILj64ELj32ELj2Ell21rocsparse_complex_numIdES2_S2_S2_EEv20rocsparse_direction_T3_S4_llNS_24const_host_device_scalarIT7_EEPKT2_PKS4_PKT4_PKT5_llS7_PT6_ll16rocsparse_order_21rocsparse_index_base_b
                                        ; -- End function
	.section	.AMDGPU.csdata,"",@progbits
; Kernel info:
; codeLenInByte = 1864
; NumSgprs: 45
; NumVgprs: 72
; NumAgprs: 0
; TotalNumVgprs: 72
; ScratchSize: 24
; MemoryBound: 1
; FloatMode: 240
; IeeeMode: 1
; LDSByteSize: 3584 bytes/workgroup (compile time only)
; SGPRBlocks: 5
; VGPRBlocks: 8
; NumSGPRsForWavesPerEU: 45
; NumVGPRsForWavesPerEU: 72
; AccumOffset: 72
; Occupancy: 5
; WaveLimiterHint : 1
; COMPUTE_PGM_RSRC2:SCRATCH_EN: 1
; COMPUTE_PGM_RSRC2:USER_SGPR: 8
; COMPUTE_PGM_RSRC2:TRAP_HANDLER: 0
; COMPUTE_PGM_RSRC2:TGID_X_EN: 1
; COMPUTE_PGM_RSRC2:TGID_Y_EN: 0
; COMPUTE_PGM_RSRC2:TGID_Z_EN: 0
; COMPUTE_PGM_RSRC2:TIDIG_COMP_CNT: 0
; COMPUTE_PGM_RSRC3_GFX90A:ACCUM_OFFSET: 17
; COMPUTE_PGM_RSRC3_GFX90A:TG_SPLIT: 0
	.section	.text._ZN9rocsparseL29bsrmmnt_small_blockdim_kernelILj64ELj64ELj2Ell21rocsparse_complex_numIdES2_S2_S2_EEv20rocsparse_direction_T3_S4_llNS_24const_host_device_scalarIT7_EEPKT2_PKS4_PKT4_PKT5_llS7_PT6_ll16rocsparse_order_21rocsparse_index_base_b,"axG",@progbits,_ZN9rocsparseL29bsrmmnt_small_blockdim_kernelILj64ELj64ELj2Ell21rocsparse_complex_numIdES2_S2_S2_EEv20rocsparse_direction_T3_S4_llNS_24const_host_device_scalarIT7_EEPKT2_PKS4_PKT4_PKT5_llS7_PT6_ll16rocsparse_order_21rocsparse_index_base_b,comdat
	.globl	_ZN9rocsparseL29bsrmmnt_small_blockdim_kernelILj64ELj64ELj2Ell21rocsparse_complex_numIdES2_S2_S2_EEv20rocsparse_direction_T3_S4_llNS_24const_host_device_scalarIT7_EEPKT2_PKS4_PKT4_PKT5_llS7_PT6_ll16rocsparse_order_21rocsparse_index_base_b ; -- Begin function _ZN9rocsparseL29bsrmmnt_small_blockdim_kernelILj64ELj64ELj2Ell21rocsparse_complex_numIdES2_S2_S2_EEv20rocsparse_direction_T3_S4_llNS_24const_host_device_scalarIT7_EEPKT2_PKS4_PKT4_PKT5_llS7_PT6_ll16rocsparse_order_21rocsparse_index_base_b
	.p2align	8
	.type	_ZN9rocsparseL29bsrmmnt_small_blockdim_kernelILj64ELj64ELj2Ell21rocsparse_complex_numIdES2_S2_S2_EEv20rocsparse_direction_T3_S4_llNS_24const_host_device_scalarIT7_EEPKT2_PKS4_PKT4_PKT5_llS7_PT6_ll16rocsparse_order_21rocsparse_index_base_b,@function
_ZN9rocsparseL29bsrmmnt_small_blockdim_kernelILj64ELj64ELj2Ell21rocsparse_complex_numIdES2_S2_S2_EEv20rocsparse_direction_T3_S4_llNS_24const_host_device_scalarIT7_EEPKT2_PKS4_PKT4_PKT5_llS7_PT6_ll16rocsparse_order_21rocsparse_index_base_b: ; @_ZN9rocsparseL29bsrmmnt_small_blockdim_kernelILj64ELj64ELj2Ell21rocsparse_complex_numIdES2_S2_S2_EEv20rocsparse_direction_T3_S4_llNS_24const_host_device_scalarIT7_EEPKT2_PKS4_PKT4_PKT5_llS7_PT6_ll16rocsparse_order_21rocsparse_index_base_b
; %bb.0:
	s_add_u32 flat_scratch_lo, s6, s9
	s_load_dwordx4 s[24:27], s[4:5], 0x90
	s_load_dwordx4 s[16:19], s[4:5], 0x28
	s_addc_u32 flat_scratch_hi, s7, 0
	s_add_u32 s0, s0, s9
	s_load_dwordx4 s[12:15], s[4:5], 0x68
	s_addc_u32 s1, s1, 0
	s_waitcnt lgkmcnt(0)
	s_bitcmp1_b32 s26, 0
	v_mov_b32_e32 v1, 0
	v_mov_b32_e32 v3, s16
	s_cselect_b64 s[6:7], -1, 0
	v_cndmask_b32_e64 v2, v3, v1, s[6:7]
	v_mov_b32_e32 v1, s17
	s_mov_b64 s[10:11], src_private_base
	s_and_b64 vcc, s[6:7], exec
	buffer_store_dword v1, off, s[0:3], 0 offset:4
	buffer_store_dword v3, off, s[0:3], 0
	v_mov_b32_e32 v1, s13
	s_cselect_b32 s9, s11, s17
	buffer_store_dword v1, off, s[0:3], 0 offset:12
	v_mov_b32_e32 v1, s12
	buffer_store_dword v1, off, s[0:3], 0 offset:8
	v_mov_b32_e32 v3, s9
	flat_load_dwordx2 v[10:11], v[2:3]
	s_xor_b64 s[20:21], s[6:7], -1
	v_pk_mov_b32 v[12:13], s[18:19], s[18:19] op_sel:[0,1]
	s_cbranch_vccnz .LBB68_2
; %bb.1:
	v_pk_mov_b32 v[2:3], s[16:17], s[16:17] op_sel:[0,1]
	flat_load_dwordx2 v[12:13], v[2:3] offset:8
.LBB68_2:
	s_and_b64 s[16:17], s[6:7], exec
	s_cselect_b32 s9, s11, s13
	v_mov_b32_e32 v1, 8
	v_mov_b32_e32 v2, s12
	v_cndmask_b32_e64 v2, v2, v1, s[6:7]
	v_mov_b32_e32 v3, s9
	flat_load_dwordx2 v[14:15], v[2:3]
	s_andn2_b64 vcc, exec, s[20:21]
	v_pk_mov_b32 v[16:17], s[14:15], s[14:15] op_sel:[0,1]
	s_cbranch_vccnz .LBB68_4
; %bb.3:
	v_pk_mov_b32 v[2:3], s[12:13], s[12:13] op_sel:[0,1]
	flat_load_dwordx2 v[16:17], v[2:3] offset:8
.LBB68_4:
	s_waitcnt vmcnt(0) lgkmcnt(0)
	v_cmp_eq_f64_e32 vcc, 0, v[10:11]
	v_cmp_eq_f64_e64 s[6:7], 0, v[12:13]
	s_and_b64 s[12:13], vcc, s[6:7]
	s_mov_b64 s[6:7], -1
	s_and_saveexec_b64 s[10:11], s[12:13]
; %bb.5:
	v_cmp_neq_f64_e32 vcc, 1.0, v[14:15]
	v_cmp_neq_f64_e64 s[6:7], 0, v[16:17]
	s_or_b64 s[6:7], vcc, s[6:7]
	s_orn2_b64 s[6:7], s[6:7], exec
; %bb.6:
	s_or_b64 exec, exec, s[10:11]
	s_and_saveexec_b64 s[10:11], s[6:7]
	s_cbranch_execz .LBB68_31
; %bb.7:
	s_load_dword s6, s[4:5], 0xac
	s_load_dwordx4 s[16:19], s[4:5], 0x8
	v_mov_b32_e32 v3, 0
	s_waitcnt lgkmcnt(0)
	s_and_b32 s6, s6, 0xffff
	s_mul_i32 s8, s8, s6
	v_add_u32_e32 v1, s8, v0
	v_lshrrev_b32_e32 v2, 7, v1
	v_cmp_gt_i64_e32 vcc, s[16:17], v[2:3]
	s_and_b64 exec, exec, vcc
	s_cbranch_execz .LBB68_31
; %bb.8:
	v_cmp_lt_i64_e64 s[6:7], s[18:19], 1
	s_and_b64 vcc, exec, s[6:7]
	s_cbranch_vccnz .LBB68_31
; %bb.9:
	s_load_dwordx8 s[8:15], s[4:5], 0x38
	v_lshlrev_b32_e32 v2, 3, v2
	v_cmp_neq_f64_e32 vcc, 0, v[14:15]
	v_lshrrev_b32_e32 v19, 6, v1
	v_mul_u32_u24_e32 v8, 3, v0
	s_waitcnt lgkmcnt(0)
	global_load_dwordx4 v[2:5], v2, s[8:9]
	s_load_dword s6, s[4:5], 0x0
	s_load_dwordx4 s[20:23], s[4:5], 0x78
	s_load_dwordx2 s[8:9], s[4:5], 0x58
	v_cmp_neq_f64_e64 s[4:5], 0, v[16:17]
	s_or_b64 s[26:27], vcc, s[4:5]
	s_cmp_lg_u32 s24, 1
	v_lshlrev_b32_e32 v39, 4, v8
	s_cselect_b64 s[28:29], -1, 0
	s_waitcnt lgkmcnt(0)
	s_cmp_eq_u32 s6, 0
	v_mad_u64_u32 v[8:9], s[4:5], v19, s22, 0
	v_lshlrev_b32_e32 v20, 4, v19
	v_mov_b32_e32 v18, v9
	s_cselect_b64 s[4:5], -1, 0
	v_bfe_u32 v6, v1, 6, 1
	v_mov_b32_e32 v7, 0
	v_add_co_u32_e32 v40, vcc, s20, v20
	v_cndmask_b32_e64 v9, 0, 1, s[4:5]
	v_mad_u64_u32 v[20:21], s[6:7], v19, s23, v[18:19]
	v_mov_b32_e32 v22, s21
	v_lshlrev_b64 v[18:19], v9, v[6:7]
	v_mov_b32_e32 v9, v20
	v_addc_co_u32_e32 v41, vcc, 0, v22, vcc
	v_lshlrev_b64 v[6:7], 4, v[8:9]
	v_add_co_u32_e32 v42, vcc, s20, v6
	v_addc_co_u32_e32 v43, vcc, v22, v7, vcc
	v_mov_b32_e32 v1, 0xc00
	s_and_b64 s[4:5], s[4:5], exec
	s_mov_b32 s33, 0
	s_mov_b32 s36, s25
	s_mov_b64 s[16:17], 0
	v_lshl_or_b32 v38, v0, 3, v1
	s_cselect_b32 s37, 1, 2
	s_lshl_b64 s[20:21], s[8:9], 4
	s_waitcnt vmcnt(0)
	v_subrev_co_u32_e32 v20, vcc, s25, v2
	v_subbrev_co_u32_e32 v21, vcc, 0, v3, vcc
	v_subrev_co_u32_e32 v22, vcc, s25, v4
	v_subbrev_co_u32_e32 v23, vcc, 0, v5, vcc
	v_cmp_lt_i64_e64 s[4:5], v[2:3], v[4:5]
	s_branch .LBB68_11
.LBB68_10:                              ;   in Loop: Header=BB68_11 Depth=1
	s_or_b64 exec, exec, s[6:7]
	s_add_u32 s16, s16, 64
	s_addc_u32 s17, s17, 0
	v_pk_mov_b32 v[2:3], s[18:19], s[18:19] op_sel:[0,1]
	v_cmp_lt_i64_e32 vcc, s[16:17], v[2:3]
	s_cbranch_vccz .LBB68_31
.LBB68_11:                              ; =>This Loop Header: Depth=1
                                        ;     Child Loop BB68_14 Depth 2
                                        ;       Child Loop BB68_18 Depth 3
	v_pk_mov_b32 v[26:27], 0, 0
	v_or_b32_e64 v25, s17, 0
	v_or_b32_e32 v24, s16, v0
	v_pk_mov_b32 v[28:29], v[26:27], v[26:27] op_sel:[0,1]
	s_and_saveexec_b64 s[24:25], s[4:5]
	s_cbranch_execz .LBB68_20
; %bb.12:                               ;   in Loop: Header=BB68_11 Depth=1
	v_lshlrev_b64 v[2:3], 4, v[24:25]
	v_mov_b32_e32 v4, s15
	v_add_co_u32_e64 v44, s[6:7], s14, v2
	v_pk_mov_b32 v[30:31], 0, 0
	v_cmp_gt_i64_e32 vcc, s[18:19], v[24:25]
	v_addc_co_u32_e64 v45, s[6:7], v4, v3, s[6:7]
	s_mov_b64 s[30:31], 0
	v_pk_mov_b32 v[32:33], v[20:21], v[20:21] op_sel:[0,1]
	v_pk_mov_b32 v[26:27], v[30:31], v[30:31] op_sel:[0,1]
	;; [unrolled: 1-line block ×3, first 2 shown]
	s_branch .LBB68_14
.LBB68_13:                              ;   in Loop: Header=BB68_14 Depth=2
	s_or_b64 exec, exec, s[34:35]
	v_add_co_u32_e64 v32, s[6:7], 64, v32
	v_addc_co_u32_e64 v33, s[6:7], 0, v33, s[6:7]
	v_cmp_ge_i64_e64 s[6:7], v[32:33], v[22:23]
	s_or_b64 s[30:31], s[6:7], s[30:31]
	s_andn2_b64 exec, exec, s[30:31]
	s_cbranch_execz .LBB68_19
.LBB68_14:                              ;   Parent Loop BB68_11 Depth=1
                                        ; =>  This Loop Header: Depth=2
                                        ;       Child Loop BB68_18 Depth 3
	v_add_co_u32_e64 v36, s[6:7], v32, v0
	v_addc_co_u32_e64 v37, s[6:7], 0, v33, s[6:7]
	v_cmp_lt_i64_e64 s[6:7], v[36:37], v[22:23]
	v_pk_mov_b32 v[34:35], v[30:31], v[30:31] op_sel:[0,1]
	v_pk_mov_b32 v[6:7], v[30:31], v[30:31] op_sel:[0,1]
	;; [unrolled: 1-line block ×5, first 2 shown]
	s_and_saveexec_b64 s[34:35], s[6:7]
	s_cbranch_execz .LBB68_16
; %bb.15:                               ;   in Loop: Header=BB68_14 Depth=2
	v_lshlrev_b64 v[2:3], 3, v[36:37]
	v_mov_b32_e32 v4, s11
	v_add_co_u32_e64 v2, s[6:7], s10, v2
	v_addc_co_u32_e64 v3, s[6:7], v4, v3, s[6:7]
	global_load_dwordx2 v[34:35], v[2:3], off
	v_lshlrev_b64 v[2:3], 2, v[36:37]
	v_or_b32_e32 v3, v3, v19
	v_or_b32_e32 v2, v2, v18
	v_lshlrev_b64 v[4:5], 4, v[2:3]
	v_mov_b32_e32 v6, s13
	v_add_co_u32_e64 v36, s[6:7], s12, v4
	v_or_b32_e32 v3, 0, v3
	v_or_b32_e32 v2, s37, v2
	v_addc_co_u32_e64 v37, s[6:7], v6, v5, s[6:7]
	v_lshlrev_b64 v[2:3], 4, v[2:3]
	v_add_co_u32_e64 v46, s[6:7], s12, v2
	v_addc_co_u32_e64 v47, s[6:7], v6, v3, s[6:7]
	global_load_dwordx4 v[6:9], v[36:37], off
	global_load_dwordx4 v[2:5], v[46:47], off
	v_mov_b32_e32 v36, s33
	s_waitcnt vmcnt(2)
	v_subrev_co_u32_e64 v34, s[6:7], s36, v34
	v_subb_co_u32_e64 v35, s[6:7], v35, v36, s[6:7]
	v_lshlrev_b64 v[34:35], 1, v[34:35]
.LBB68_16:                              ;   in Loop: Header=BB68_14 Depth=2
	s_or_b64 exec, exec, s[34:35]
	ds_write_b64 v38, v[34:35]
	s_waitcnt vmcnt(1)
	ds_write_b128 v39, v[6:9]
	s_waitcnt vmcnt(0)
	ds_write_b128 v39, v[2:5] offset:16
	s_waitcnt lgkmcnt(0)
	; wave barrier
	s_waitcnt lgkmcnt(0)
	s_and_saveexec_b64 s[34:35], vcc
	s_cbranch_execz .LBB68_13
; %bb.17:                               ;   in Loop: Header=BB68_14 Depth=2
	s_mov_b32 s38, 0
	v_mov_b32_e32 v2, 0
.LBB68_18:                              ;   Parent Loop BB68_11 Depth=1
                                        ;     Parent Loop BB68_14 Depth=2
                                        ; =>    This Inner Loop Header: Depth=3
	v_add_u32_e32 v3, s38, v1
	ds_read_b128 v[4:7], v3
	v_mov_b32_e32 v52, s21
	s_add_i32 s38, s38, 16
	s_cmpk_lg_i32 s38, 0x200
	s_waitcnt lgkmcnt(0)
	v_mul_lo_u32 v3, v5, s8
	v_mul_lo_u32 v8, v4, s9
	v_mad_u64_u32 v[4:5], s[6:7], v4, s8, 0
	v_add3_u32 v5, v5, v8, v3
	v_mul_lo_u32 v9, v7, s8
	v_mul_lo_u32 v34, v6, s9
	v_mad_u64_u32 v[6:7], s[6:7], v6, s8, 0
	v_lshlrev_b64 v[4:5], 4, v[4:5]
	v_add3_u32 v7, v7, v34, v9
	v_add_co_u32_e64 v8, s[6:7], v44, v4
	v_lshlrev_b64 v[6:7], 4, v[6:7]
	v_addc_co_u32_e64 v9, s[6:7], v45, v5, s[6:7]
	v_add_co_u32_e64 v50, s[6:7], v44, v6
	v_addc_co_u32_e64 v51, s[6:7], v45, v7, s[6:7]
	v_add_co_u32_e64 v46, s[6:7], s20, v8
	v_addc_co_u32_e64 v47, s[6:7], v9, v52, s[6:7]
	global_load_dwordx4 v[4:7], v[8:9], off
	global_load_dwordx4 v[34:37], v[50:51], off
	v_add_co_u32_e64 v8, s[6:7], s20, v50
	global_load_dwordx4 v[46:49], v[46:47], off
	v_addc_co_u32_e64 v9, s[6:7], v51, v52, s[6:7]
	global_load_dwordx4 v[50:53], v[8:9], off
	ds_read_b128 v[54:57], v2
	ds_read_b128 v[58:61], v2 offset:16
	ds_read_b128 v[62:65], v2 offset:48
	;; [unrolled: 1-line block ×3, first 2 shown]
	v_add_u32_e32 v2, 0x60, v2
	s_waitcnt vmcnt(3) lgkmcnt(3)
	v_fmac_f64_e32 v[28:29], v[54:55], v[4:5]
	v_fmac_f64_e32 v[26:27], v[56:57], v[4:5]
	v_fma_f64 v[4:5], -v[56:57], v[6:7], v[28:29]
	v_fmac_f64_e32 v[26:27], v[54:55], v[6:7]
	s_waitcnt vmcnt(1) lgkmcnt(2)
	v_fmac_f64_e32 v[4:5], v[58:59], v[46:47]
	v_fmac_f64_e32 v[26:27], v[60:61], v[46:47]
	v_fma_f64 v[4:5], -v[60:61], v[48:49], v[4:5]
	v_fmac_f64_e32 v[26:27], v[58:59], v[48:49]
	s_waitcnt lgkmcnt(1)
	v_fmac_f64_e32 v[4:5], v[62:63], v[34:35]
	v_fmac_f64_e32 v[26:27], v[64:65], v[34:35]
	v_fma_f64 v[4:5], -v[64:65], v[36:37], v[4:5]
	v_fmac_f64_e32 v[26:27], v[62:63], v[36:37]
	s_waitcnt vmcnt(0) lgkmcnt(0)
	v_fmac_f64_e32 v[4:5], v[66:67], v[50:51]
	v_fmac_f64_e32 v[26:27], v[68:69], v[50:51]
	v_fma_f64 v[28:29], -v[68:69], v[52:53], v[4:5]
	v_fmac_f64_e32 v[26:27], v[66:67], v[52:53]
	s_cbranch_scc1 .LBB68_18
	s_branch .LBB68_13
.LBB68_19:                              ;   in Loop: Header=BB68_11 Depth=1
	s_or_b64 exec, exec, s[30:31]
.LBB68_20:                              ;   in Loop: Header=BB68_11 Depth=1
	s_or_b64 exec, exec, s[24:25]
	v_cmp_gt_i64_e32 vcc, s[18:19], v[24:25]
	s_and_saveexec_b64 s[6:7], vcc
	s_cbranch_execz .LBB68_10
; %bb.21:                               ;   in Loop: Header=BB68_11 Depth=1
	s_and_saveexec_b64 s[24:25], s[26:27]
	s_xor_b64 s[24:25], exec, s[24:25]
	s_cbranch_execz .LBB68_26
; %bb.22:                               ;   in Loop: Header=BB68_11 Depth=1
	s_mov_b64 s[30:31], -1
	s_and_b64 vcc, exec, s[28:29]
	s_cbranch_vccz .LBB68_24
; %bb.23:                               ;   in Loop: Header=BB68_11 Depth=1
	v_lshlrev_b64 v[2:3], 4, v[24:25]
	v_add_co_u32_e32 v30, vcc, v42, v2
	v_addc_co_u32_e32 v31, vcc, v43, v3, vcc
	global_load_dwordx4 v[2:5], v[30:31], off
	v_mul_f64 v[6:7], v[26:27], -v[12:13]
	v_mul_f64 v[8:9], v[10:11], v[26:27]
	v_fmac_f64_e32 v[6:7], v[10:11], v[28:29]
	v_fmac_f64_e32 v[8:9], v[12:13], v[28:29]
	s_mov_b64 s[30:31], 0
	s_waitcnt vmcnt(0)
	v_fmac_f64_e32 v[6:7], v[14:15], v[2:3]
	v_fmac_f64_e32 v[8:9], v[16:17], v[2:3]
	v_fma_f64 v[6:7], -v[16:17], v[4:5], v[6:7]
	v_fmac_f64_e32 v[8:9], v[14:15], v[4:5]
	global_store_dwordx4 v[30:31], v[6:9], off
.LBB68_24:                              ;   in Loop: Header=BB68_11 Depth=1
	s_andn2_b64 vcc, exec, s[30:31]
	s_cbranch_vccnz .LBB68_26
; %bb.25:                               ;   in Loop: Header=BB68_11 Depth=1
	v_mul_lo_u32 v4, v25, s22
	v_mul_lo_u32 v5, v24, s23
	v_mad_u64_u32 v[2:3], s[30:31], v24, s22, 0
	v_add3_u32 v3, v3, v5, v4
	v_lshlrev_b64 v[2:3], 4, v[2:3]
	v_add_co_u32_e32 v24, vcc, v40, v2
	v_addc_co_u32_e32 v25, vcc, v41, v3, vcc
	global_load_dwordx4 v[2:5], v[24:25], off
	v_mul_f64 v[6:7], v[26:27], -v[12:13]
	v_mul_f64 v[8:9], v[10:11], v[26:27]
	v_fmac_f64_e32 v[6:7], v[10:11], v[28:29]
	v_fmac_f64_e32 v[8:9], v[12:13], v[28:29]
                                        ; implicit-def: $vgpr26_vgpr27
                                        ; implicit-def: $vgpr28_vgpr29
	s_waitcnt vmcnt(0)
	v_fmac_f64_e32 v[6:7], v[14:15], v[2:3]
	v_fmac_f64_e32 v[8:9], v[16:17], v[2:3]
	v_fma_f64 v[6:7], -v[16:17], v[4:5], v[6:7]
	v_fmac_f64_e32 v[8:9], v[14:15], v[4:5]
	global_store_dwordx4 v[24:25], v[6:9], off
                                        ; implicit-def: $vgpr24_vgpr25
.LBB68_26:                              ;   in Loop: Header=BB68_11 Depth=1
	s_andn2_saveexec_b64 s[24:25], s[24:25]
	s_cbranch_execz .LBB68_10
; %bb.27:                               ;   in Loop: Header=BB68_11 Depth=1
	v_mul_f64 v[2:3], v[26:27], -v[12:13]
	v_mul_f64 v[4:5], v[10:11], v[26:27]
	v_fmac_f64_e32 v[2:3], v[10:11], v[28:29]
	v_fmac_f64_e32 v[4:5], v[12:13], v[28:29]
	s_mov_b64 s[24:25], -1
	s_and_b64 vcc, exec, s[28:29]
	s_cbranch_vccz .LBB68_29
; %bb.28:                               ;   in Loop: Header=BB68_11 Depth=1
	v_lshlrev_b64 v[6:7], 4, v[24:25]
	v_add_co_u32_e32 v6, vcc, v42, v6
	v_addc_co_u32_e32 v7, vcc, v43, v7, vcc
	global_store_dwordx4 v[6:7], v[2:5], off
	s_mov_b64 s[24:25], 0
.LBB68_29:                              ;   in Loop: Header=BB68_11 Depth=1
	s_andn2_b64 vcc, exec, s[24:25]
	s_cbranch_vccnz .LBB68_10
; %bb.30:                               ;   in Loop: Header=BB68_11 Depth=1
	v_mul_lo_u32 v8, v25, s22
	v_mul_lo_u32 v9, v24, s23
	v_mad_u64_u32 v[6:7], s[24:25], v24, s22, 0
	v_add3_u32 v7, v7, v9, v8
	v_lshlrev_b64 v[6:7], 4, v[6:7]
	v_add_co_u32_e32 v6, vcc, v40, v6
	v_addc_co_u32_e32 v7, vcc, v41, v7, vcc
	global_store_dwordx4 v[6:7], v[2:5], off
	s_branch .LBB68_10
.LBB68_31:
	s_endpgm
	.section	.rodata,"a",@progbits
	.p2align	6, 0x0
	.amdhsa_kernel _ZN9rocsparseL29bsrmmnt_small_blockdim_kernelILj64ELj64ELj2Ell21rocsparse_complex_numIdES2_S2_S2_EEv20rocsparse_direction_T3_S4_llNS_24const_host_device_scalarIT7_EEPKT2_PKS4_PKT4_PKT5_llS7_PT6_ll16rocsparse_order_21rocsparse_index_base_b
		.amdhsa_group_segment_fixed_size 3584
		.amdhsa_private_segment_fixed_size 24
		.amdhsa_kernarg_size 416
		.amdhsa_user_sgpr_count 8
		.amdhsa_user_sgpr_private_segment_buffer 1
		.amdhsa_user_sgpr_dispatch_ptr 0
		.amdhsa_user_sgpr_queue_ptr 0
		.amdhsa_user_sgpr_kernarg_segment_ptr 1
		.amdhsa_user_sgpr_dispatch_id 0
		.amdhsa_user_sgpr_flat_scratch_init 1
		.amdhsa_user_sgpr_kernarg_preload_length 0
		.amdhsa_user_sgpr_kernarg_preload_offset 0
		.amdhsa_user_sgpr_private_segment_size 0
		.amdhsa_uses_dynamic_stack 0
		.amdhsa_system_sgpr_private_segment_wavefront_offset 1
		.amdhsa_system_sgpr_workgroup_id_x 1
		.amdhsa_system_sgpr_workgroup_id_y 0
		.amdhsa_system_sgpr_workgroup_id_z 0
		.amdhsa_system_sgpr_workgroup_info 0
		.amdhsa_system_vgpr_workitem_id 0
		.amdhsa_next_free_vgpr 70
		.amdhsa_next_free_sgpr 39
		.amdhsa_accum_offset 72
		.amdhsa_reserve_vcc 1
		.amdhsa_reserve_flat_scratch 1
		.amdhsa_float_round_mode_32 0
		.amdhsa_float_round_mode_16_64 0
		.amdhsa_float_denorm_mode_32 3
		.amdhsa_float_denorm_mode_16_64 3
		.amdhsa_dx10_clamp 1
		.amdhsa_ieee_mode 1
		.amdhsa_fp16_overflow 0
		.amdhsa_tg_split 0
		.amdhsa_exception_fp_ieee_invalid_op 0
		.amdhsa_exception_fp_denorm_src 0
		.amdhsa_exception_fp_ieee_div_zero 0
		.amdhsa_exception_fp_ieee_overflow 0
		.amdhsa_exception_fp_ieee_underflow 0
		.amdhsa_exception_fp_ieee_inexact 0
		.amdhsa_exception_int_div_zero 0
	.end_amdhsa_kernel
	.section	.text._ZN9rocsparseL29bsrmmnt_small_blockdim_kernelILj64ELj64ELj2Ell21rocsparse_complex_numIdES2_S2_S2_EEv20rocsparse_direction_T3_S4_llNS_24const_host_device_scalarIT7_EEPKT2_PKS4_PKT4_PKT5_llS7_PT6_ll16rocsparse_order_21rocsparse_index_base_b,"axG",@progbits,_ZN9rocsparseL29bsrmmnt_small_blockdim_kernelILj64ELj64ELj2Ell21rocsparse_complex_numIdES2_S2_S2_EEv20rocsparse_direction_T3_S4_llNS_24const_host_device_scalarIT7_EEPKT2_PKS4_PKT4_PKT5_llS7_PT6_ll16rocsparse_order_21rocsparse_index_base_b,comdat
.Lfunc_end68:
	.size	_ZN9rocsparseL29bsrmmnt_small_blockdim_kernelILj64ELj64ELj2Ell21rocsparse_complex_numIdES2_S2_S2_EEv20rocsparse_direction_T3_S4_llNS_24const_host_device_scalarIT7_EEPKT2_PKS4_PKT4_PKT5_llS7_PT6_ll16rocsparse_order_21rocsparse_index_base_b, .Lfunc_end68-_ZN9rocsparseL29bsrmmnt_small_blockdim_kernelILj64ELj64ELj2Ell21rocsparse_complex_numIdES2_S2_S2_EEv20rocsparse_direction_T3_S4_llNS_24const_host_device_scalarIT7_EEPKT2_PKS4_PKT4_PKT5_llS7_PT6_ll16rocsparse_order_21rocsparse_index_base_b
                                        ; -- End function
	.section	.AMDGPU.csdata,"",@progbits
; Kernel info:
; codeLenInByte = 1828
; NumSgprs: 45
; NumVgprs: 70
; NumAgprs: 0
; TotalNumVgprs: 70
; ScratchSize: 24
; MemoryBound: 1
; FloatMode: 240
; IeeeMode: 1
; LDSByteSize: 3584 bytes/workgroup (compile time only)
; SGPRBlocks: 5
; VGPRBlocks: 8
; NumSGPRsForWavesPerEU: 45
; NumVGPRsForWavesPerEU: 70
; AccumOffset: 72
; Occupancy: 5
; WaveLimiterHint : 1
; COMPUTE_PGM_RSRC2:SCRATCH_EN: 1
; COMPUTE_PGM_RSRC2:USER_SGPR: 8
; COMPUTE_PGM_RSRC2:TRAP_HANDLER: 0
; COMPUTE_PGM_RSRC2:TGID_X_EN: 1
; COMPUTE_PGM_RSRC2:TGID_Y_EN: 0
; COMPUTE_PGM_RSRC2:TGID_Z_EN: 0
; COMPUTE_PGM_RSRC2:TIDIG_COMP_CNT: 0
; COMPUTE_PGM_RSRC3_GFX90A:ACCUM_OFFSET: 17
; COMPUTE_PGM_RSRC3_GFX90A:TG_SPLIT: 0
	.section	.text._ZN9rocsparseL29bsrmmnt_small_blockdim_kernelILj64ELj8ELj2EiiDF16_DF16_ffEEv20rocsparse_direction_T3_S2_llNS_24const_host_device_scalarIT7_EEPKT2_PKS2_PKT4_PKT5_llS5_PT6_ll16rocsparse_order_21rocsparse_index_base_b,"axG",@progbits,_ZN9rocsparseL29bsrmmnt_small_blockdim_kernelILj64ELj8ELj2EiiDF16_DF16_ffEEv20rocsparse_direction_T3_S2_llNS_24const_host_device_scalarIT7_EEPKT2_PKS2_PKT4_PKT5_llS5_PT6_ll16rocsparse_order_21rocsparse_index_base_b,comdat
	.globl	_ZN9rocsparseL29bsrmmnt_small_blockdim_kernelILj64ELj8ELj2EiiDF16_DF16_ffEEv20rocsparse_direction_T3_S2_llNS_24const_host_device_scalarIT7_EEPKT2_PKS2_PKT4_PKT5_llS5_PT6_ll16rocsparse_order_21rocsparse_index_base_b ; -- Begin function _ZN9rocsparseL29bsrmmnt_small_blockdim_kernelILj64ELj8ELj2EiiDF16_DF16_ffEEv20rocsparse_direction_T3_S2_llNS_24const_host_device_scalarIT7_EEPKT2_PKS2_PKT4_PKT5_llS5_PT6_ll16rocsparse_order_21rocsparse_index_base_b
	.p2align	8
	.type	_ZN9rocsparseL29bsrmmnt_small_blockdim_kernelILj64ELj8ELj2EiiDF16_DF16_ffEEv20rocsparse_direction_T3_S2_llNS_24const_host_device_scalarIT7_EEPKT2_PKS2_PKT4_PKT5_llS5_PT6_ll16rocsparse_order_21rocsparse_index_base_b,@function
_ZN9rocsparseL29bsrmmnt_small_blockdim_kernelILj64ELj8ELj2EiiDF16_DF16_ffEEv20rocsparse_direction_T3_S2_llNS_24const_host_device_scalarIT7_EEPKT2_PKS2_PKT4_PKT5_llS5_PT6_ll16rocsparse_order_21rocsparse_index_base_b: ; @_ZN9rocsparseL29bsrmmnt_small_blockdim_kernelILj64ELj8ELj2EiiDF16_DF16_ffEEv20rocsparse_direction_T3_S2_llNS_24const_host_device_scalarIT7_EEPKT2_PKS2_PKT4_PKT5_llS5_PT6_ll16rocsparse_order_21rocsparse_index_base_b
; %bb.0:
	s_load_dwordx4 s[16:19], s[4:5], 0x78
	s_load_dwordx2 s[28:29], s[4:5], 0x20
	s_load_dwordx2 s[30:31], s[4:5], 0x58
	s_waitcnt lgkmcnt(0)
	s_bitcmp1_b32 s18, 0
	s_cselect_b64 s[2:3], -1, 0
	s_xor_b64 s[0:1], s[2:3], -1
	s_and_b64 vcc, exec, s[2:3]
	s_cbranch_vccnz .LBB69_2
; %bb.1:
	s_load_dword s28, s[28:29], 0x0
.LBB69_2:
	s_andn2_b64 vcc, exec, s[0:1]
	s_cbranch_vccnz .LBB69_4
; %bb.3:
	s_load_dword s30, s[30:31], 0x0
.LBB69_4:
	s_waitcnt lgkmcnt(0)
	v_cmp_eq_f32_e64 s[0:1], s28, 0
	v_cmp_eq_f32_e64 s[2:3], s30, 1.0
	s_and_b64 s[0:1], s[0:1], s[2:3]
	s_and_b64 vcc, exec, s[0:1]
	s_cbranch_vccnz .LBB69_30
; %bb.5:
	s_load_dword s0, s[4:5], 0x94
	s_load_dwordx4 s[20:23], s[4:5], 0x0
	s_waitcnt lgkmcnt(0)
	s_and_b32 s0, s0, 0xffff
	s_mul_i32 s6, s6, s0
	v_add_u32_e32 v1, s6, v0
	v_lshrrev_b32_e32 v2, 4, v1
	v_cmp_gt_i32_e32 vcc, s21, v2
	s_and_saveexec_b64 s[0:1], vcc
	s_cbranch_execz .LBB69_30
; %bb.6:
	s_cmp_lt_i32 s22, 1
	s_cbranch_scc1 .LBB69_30
; %bb.7:
	s_load_dwordx8 s[8:15], s[4:5], 0x28
	v_lshlrev_b32_e32 v2, 2, v2
	s_cmp_lg_u32 s16, 1
	v_and_b32_e32 v6, 7, v0
	v_lshrrev_b32_e32 v0, 3, v0
	s_waitcnt lgkmcnt(0)
	global_load_dwordx2 v[2:3], v2, s[8:9]
	s_load_dwordx4 s[24:27], s[4:5], 0x60
	s_load_dwordx2 s[6:7], s[4:5], 0x48
	v_mov_b32_e32 v5, 0x180
	s_cselect_b64 s[8:9], -1, 0
	s_cmp_eq_u32 s20, 0
	v_lshl_add_u32 v7, v0, 5, v5
	v_mul_u32_u24_e32 v5, 3, v6
	s_cselect_b64 s[0:1], -1, 0
	v_lshrrev_b32_e32 v14, 3, v1
	v_bfe_u32 v4, v1, 3, 1
	v_lshlrev_b32_e32 v5, 1, v5
	v_cndmask_b32_e64 v11, 0, 1, s[0:1]
	v_mad_u32_u24 v10, v0, 48, v5
	s_and_b64 s[0:1], s[0:1], exec
	v_lshlrev_b32_e32 v11, v11, v4
	s_waitcnt lgkmcnt(0)
	v_mad_u64_u32 v[4:5], s[0:1], v14, s26, 0
	v_mov_b32_e32 v1, 0
	v_mul_u32_u24_e32 v8, 48, v0
	v_mov_b32_e32 v0, v5
	v_lshlrev_b32_e32 v12, 2, v14
	v_mad_u64_u32 v[14:15], s[0:1], v14, s27, v[0:1]
	v_mov_b32_e32 v16, s25
	v_add_co_u32_e32 v12, vcc, s24, v12
	v_mov_b32_e32 v5, v14
	v_addc_co_u32_e32 v13, vcc, 0, v16, vcc
	v_lshlrev_b64 v[4:5], 2, v[4:5]
	v_add_co_u32_e32 v14, vcc, s24, v4
	s_mov_b32 s16, 0
	v_cmp_neq_f32_e64 s[4:5], s30, 0
	v_lshl_or_b32 v9, v6, 2, v7
	s_cselect_b32 s23, 1, 2
	v_addc_co_u32_e32 v15, vcc, v16, v5, vcc
	s_mov_b32 s29, 0x5040100
	s_waitcnt vmcnt(0)
	v_subrev_u32_e32 v16, s17, v2
	v_subrev_u32_e32 v17, s17, v3
	v_cmp_lt_i32_e64 s[0:1], v2, v3
	s_branch .LBB69_9
.LBB69_8:                               ;   in Loop: Header=BB69_9 Depth=1
	s_or_b64 exec, exec, s[2:3]
	s_add_i32 s16, s16, 8
	s_cmp_lt_i32 s16, s22
	s_cbranch_scc0 .LBB69_30
.LBB69_9:                               ; =>This Loop Header: Depth=1
                                        ;     Child Loop BB69_12 Depth 2
                                        ;       Child Loop BB69_16 Depth 3
	v_or_b32_e32 v2, s16, v6
	v_ashrrev_i32_e32 v3, 31, v2
	v_mov_b32_e32 v18, v1
	s_and_saveexec_b64 s[18:19], s[0:1]
	s_cbranch_execz .LBB69_18
; %bb.10:                               ;   in Loop: Header=BB69_9 Depth=1
	v_lshlrev_b64 v[4:5], 1, v[2:3]
	v_mov_b32_e32 v0, s15
	v_add_co_u32_e64 v19, s[2:3], s14, v4
	v_cmp_gt_i32_e32 vcc, s22, v2
	v_addc_co_u32_e64 v20, s[2:3], v0, v5, s[2:3]
	s_mov_b64 s[20:21], 0
	v_mov_b32_e32 v18, 0
	v_mov_b32_e32 v21, v16
	s_branch .LBB69_12
.LBB69_11:                              ;   in Loop: Header=BB69_12 Depth=2
	s_or_b64 exec, exec, s[24:25]
	v_add_u32_e32 v21, 8, v21
	v_cmp_ge_i32_e64 s[2:3], v21, v17
	s_or_b64 s[20:21], s[2:3], s[20:21]
	s_andn2_b64 exec, exec, s[20:21]
	s_cbranch_execz .LBB69_17
.LBB69_12:                              ;   Parent Loop BB69_9 Depth=1
                                        ; =>  This Loop Header: Depth=2
                                        ;       Child Loop BB69_16 Depth 3
	v_add_u32_e32 v4, v21, v6
	v_cmp_lt_i32_e64 s[2:3], v4, v17
	v_mov_b32_e32 v0, 0
	v_mov_b32_e32 v5, 0
	s_and_saveexec_b64 s[24:25], s[2:3]
	s_cbranch_execz .LBB69_14
; %bb.13:                               ;   in Loop: Header=BB69_12 Depth=2
	v_ashrrev_i32_e32 v5, 31, v4
	v_lshlrev_b64 v[22:23], 2, v[4:5]
	v_mov_b32_e32 v0, s11
	v_add_co_u32_e64 v22, s[2:3], s10, v22
	v_addc_co_u32_e64 v23, s[2:3], v0, v23, s[2:3]
	v_lshl_or_b32 v0, v4, 2, v11
	v_lshlrev_b64 v[4:5], 1, v[0:1]
	v_mov_b32_e32 v25, s13
	v_add_co_u32_e64 v4, s[2:3], s12, v4
	v_or_b32_e32 v0, s23, v0
	global_load_dword v24, v[22:23], off
	v_addc_co_u32_e64 v5, s[2:3], v25, v5, s[2:3]
	v_lshlrev_b64 v[22:23], 1, v[0:1]
	v_add_co_u32_e64 v22, s[2:3], s12, v22
	v_addc_co_u32_e64 v23, s[2:3], v25, v23, s[2:3]
	global_load_ushort v25, v[4:5], off
	global_load_ushort v26, v[22:23], off
	s_waitcnt vmcnt(2)
	v_subrev_u32_e32 v0, s17, v24
	v_lshlrev_b32_e32 v0, 1, v0
	s_waitcnt vmcnt(0)
	v_perm_b32 v5, v26, v25, s29
.LBB69_14:                              ;   in Loop: Header=BB69_12 Depth=2
	s_or_b64 exec, exec, s[24:25]
	ds_write_b32 v9, v0
	ds_write_b32 v10, v5
	s_waitcnt lgkmcnt(0)
	; wave barrier
	s_waitcnt lgkmcnt(0)
	s_and_saveexec_b64 s[24:25], vcc
	s_cbranch_execz .LBB69_11
; %bb.15:                               ;   in Loop: Header=BB69_12 Depth=2
	s_mov_b32 s31, 0
	v_mov_b32_e32 v0, v8
.LBB69_16:                              ;   Parent Loop BB69_9 Depth=1
                                        ;     Parent Loop BB69_12 Depth=2
                                        ; =>    This Inner Loop Header: Depth=3
	v_add_u32_e32 v4, s31, v7
	ds_read_b64 v[4:5], v4
	s_add_i32 s31, s31, 8
	s_cmp_lg_u32 s31, 32
	s_waitcnt lgkmcnt(0)
	v_ashrrev_i32_e32 v26, 31, v4
	v_mul_lo_u32 v28, v4, s7
	v_mad_u64_u32 v[22:23], s[2:3], v4, s6, 0
	v_mul_lo_u32 v31, v26, s6
	v_add_u32_e32 v4, 1, v4
	v_ashrrev_i32_e32 v27, 31, v5
	v_add_u32_e32 v30, 1, v5
	v_add3_u32 v23, v23, v28, v31
	v_mul_lo_u32 v29, v5, s7
	v_mad_u64_u32 v[24:25], s[2:3], v5, s6, 0
	v_ashrrev_i32_e32 v32, 31, v4
	v_mul_lo_u32 v33, v4, s7
	v_mad_u64_u32 v[4:5], s[2:3], v4, s6, 0
	v_mul_lo_u32 v34, v27, s6
	v_mad_u64_u32 v[26:27], s[2:3], v30, s6, 0
	v_lshlrev_b64 v[22:23], 1, v[22:23]
	v_add3_u32 v25, v25, v29, v34
	v_add_co_u32_e64 v22, s[2:3], v19, v22
	v_mul_lo_u32 v28, v32, s6
	v_lshlrev_b64 v[24:25], 1, v[24:25]
	v_addc_co_u32_e64 v23, s[2:3], v20, v23, s[2:3]
	v_ashrrev_i32_e32 v35, 31, v30
	v_add3_u32 v5, v5, v33, v28
	v_add_co_u32_e64 v24, s[2:3], v19, v24
	v_mul_lo_u32 v36, v30, s7
	v_mul_lo_u32 v29, v35, s6
	v_lshlrev_b64 v[4:5], 1, v[4:5]
	v_addc_co_u32_e64 v25, s[2:3], v20, v25, s[2:3]
	v_add3_u32 v27, v27, v36, v29
	v_add_co_u32_e64 v4, s[2:3], v19, v4
	v_lshlrev_b64 v[26:27], 1, v[26:27]
	v_addc_co_u32_e64 v5, s[2:3], v20, v5, s[2:3]
	v_add_co_u32_e64 v26, s[2:3], v19, v26
	v_addc_co_u32_e64 v27, s[2:3], v20, v27, s[2:3]
	global_load_ushort v28, v[22:23], off
	global_load_ushort v29, v[4:5], off
	;; [unrolled: 1-line block ×4, first 2 shown]
	ds_read_b32 v4, v0
	ds_read_u16 v5, v0 offset:6
	ds_read_u16 v22, v0 offset:8
	v_add_u32_e32 v0, 12, v0
	s_waitcnt vmcnt(3) lgkmcnt(2)
	v_fma_mix_f32 v18, v4, v28, v18 op_sel_hi:[1,1,0]
	s_waitcnt vmcnt(2)
	v_fma_mix_f32 v4, v4, v29, v18 op_sel:[1,0,0] op_sel_hi:[1,1,0]
	s_waitcnt vmcnt(1) lgkmcnt(1)
	v_fma_mix_f32 v4, v5, v30, v4 op_sel_hi:[1,1,0]
	s_waitcnt vmcnt(0) lgkmcnt(0)
	v_fma_mix_f32 v18, v22, v31, v4 op_sel_hi:[1,1,0]
	s_cbranch_scc1 .LBB69_16
	s_branch .LBB69_11
.LBB69_17:                              ;   in Loop: Header=BB69_9 Depth=1
	s_or_b64 exec, exec, s[20:21]
.LBB69_18:                              ;   in Loop: Header=BB69_9 Depth=1
	s_or_b64 exec, exec, s[18:19]
	v_cmp_gt_i32_e32 vcc, s22, v2
	s_and_saveexec_b64 s[2:3], vcc
	s_cbranch_execz .LBB69_8
; %bb.19:                               ;   in Loop: Header=BB69_9 Depth=1
	s_mov_b64 s[18:19], -1
	s_and_b64 vcc, exec, s[4:5]
	s_cbranch_vccz .LBB69_25
; %bb.20:                               ;   in Loop: Header=BB69_9 Depth=1
	s_and_b64 vcc, exec, s[8:9]
	s_cbranch_vccz .LBB69_22
; %bb.21:                               ;   in Loop: Header=BB69_9 Depth=1
	v_lshlrev_b64 v[4:5], 2, v[2:3]
	v_add_co_u32_e32 v4, vcc, v14, v4
	v_addc_co_u32_e32 v5, vcc, v15, v5, vcc
	global_load_dword v0, v[4:5], off
	v_mul_f32_e32 v19, s28, v18
	s_mov_b64 s[18:19], 0
	s_waitcnt vmcnt(0)
	v_fmac_f32_e32 v19, s30, v0
	global_store_dword v[4:5], v19, off
.LBB69_22:                              ;   in Loop: Header=BB69_9 Depth=1
	s_andn2_b64 vcc, exec, s[18:19]
	s_cbranch_vccnz .LBB69_24
; %bb.23:                               ;   in Loop: Header=BB69_9 Depth=1
	v_mul_lo_u32 v0, v3, s26
	v_mul_lo_u32 v19, v2, s27
	v_mad_u64_u32 v[4:5], s[18:19], v2, s26, 0
	v_add3_u32 v5, v5, v19, v0
	v_lshlrev_b64 v[4:5], 2, v[4:5]
	v_add_co_u32_e32 v4, vcc, v12, v4
	v_addc_co_u32_e32 v5, vcc, v13, v5, vcc
	global_load_dword v0, v[4:5], off
	v_mul_f32_e32 v19, s28, v18
	s_waitcnt vmcnt(0)
	v_fmac_f32_e32 v19, s30, v0
	global_store_dword v[4:5], v19, off
.LBB69_24:                              ;   in Loop: Header=BB69_9 Depth=1
	s_mov_b64 s[18:19], 0
.LBB69_25:                              ;   in Loop: Header=BB69_9 Depth=1
	s_andn2_b64 vcc, exec, s[18:19]
	s_cbranch_vccnz .LBB69_8
; %bb.26:                               ;   in Loop: Header=BB69_9 Depth=1
	v_mul_f32_e32 v0, s28, v18
	s_mov_b64 s[18:19], -1
	s_and_b64 vcc, exec, s[8:9]
	s_cbranch_vccz .LBB69_28
; %bb.27:                               ;   in Loop: Header=BB69_9 Depth=1
	v_lshlrev_b64 v[4:5], 2, v[2:3]
	v_add_co_u32_e32 v4, vcc, v14, v4
	v_addc_co_u32_e32 v5, vcc, v15, v5, vcc
	global_store_dword v[4:5], v0, off
	s_mov_b64 s[18:19], 0
.LBB69_28:                              ;   in Loop: Header=BB69_9 Depth=1
	s_andn2_b64 vcc, exec, s[18:19]
	s_cbranch_vccnz .LBB69_8
; %bb.29:                               ;   in Loop: Header=BB69_9 Depth=1
	v_mul_lo_u32 v4, v3, s26
	v_mul_lo_u32 v5, v2, s27
	v_mad_u64_u32 v[2:3], s[18:19], v2, s26, 0
	v_add3_u32 v3, v3, v5, v4
	v_lshlrev_b64 v[2:3], 2, v[2:3]
	v_add_co_u32_e32 v2, vcc, v12, v2
	v_addc_co_u32_e32 v3, vcc, v13, v3, vcc
	global_store_dword v[2:3], v0, off
	s_branch .LBB69_8
.LBB69_30:
	s_endpgm
	.section	.rodata,"a",@progbits
	.p2align	6, 0x0
	.amdhsa_kernel _ZN9rocsparseL29bsrmmnt_small_blockdim_kernelILj64ELj8ELj2EiiDF16_DF16_ffEEv20rocsparse_direction_T3_S2_llNS_24const_host_device_scalarIT7_EEPKT2_PKS2_PKT4_PKT5_llS5_PT6_ll16rocsparse_order_21rocsparse_index_base_b
		.amdhsa_group_segment_fixed_size 640
		.amdhsa_private_segment_fixed_size 0
		.amdhsa_kernarg_size 392
		.amdhsa_user_sgpr_count 6
		.amdhsa_user_sgpr_private_segment_buffer 1
		.amdhsa_user_sgpr_dispatch_ptr 0
		.amdhsa_user_sgpr_queue_ptr 0
		.amdhsa_user_sgpr_kernarg_segment_ptr 1
		.amdhsa_user_sgpr_dispatch_id 0
		.amdhsa_user_sgpr_flat_scratch_init 0
		.amdhsa_user_sgpr_kernarg_preload_length 0
		.amdhsa_user_sgpr_kernarg_preload_offset 0
		.amdhsa_user_sgpr_private_segment_size 0
		.amdhsa_uses_dynamic_stack 0
		.amdhsa_system_sgpr_private_segment_wavefront_offset 0
		.amdhsa_system_sgpr_workgroup_id_x 1
		.amdhsa_system_sgpr_workgroup_id_y 0
		.amdhsa_system_sgpr_workgroup_id_z 0
		.amdhsa_system_sgpr_workgroup_info 0
		.amdhsa_system_vgpr_workitem_id 0
		.amdhsa_next_free_vgpr 37
		.amdhsa_next_free_sgpr 32
		.amdhsa_accum_offset 40
		.amdhsa_reserve_vcc 1
		.amdhsa_reserve_flat_scratch 0
		.amdhsa_float_round_mode_32 0
		.amdhsa_float_round_mode_16_64 0
		.amdhsa_float_denorm_mode_32 3
		.amdhsa_float_denorm_mode_16_64 3
		.amdhsa_dx10_clamp 1
		.amdhsa_ieee_mode 1
		.amdhsa_fp16_overflow 0
		.amdhsa_tg_split 0
		.amdhsa_exception_fp_ieee_invalid_op 0
		.amdhsa_exception_fp_denorm_src 0
		.amdhsa_exception_fp_ieee_div_zero 0
		.amdhsa_exception_fp_ieee_overflow 0
		.amdhsa_exception_fp_ieee_underflow 0
		.amdhsa_exception_fp_ieee_inexact 0
		.amdhsa_exception_int_div_zero 0
	.end_amdhsa_kernel
	.section	.text._ZN9rocsparseL29bsrmmnt_small_blockdim_kernelILj64ELj8ELj2EiiDF16_DF16_ffEEv20rocsparse_direction_T3_S2_llNS_24const_host_device_scalarIT7_EEPKT2_PKS2_PKT4_PKT5_llS5_PT6_ll16rocsparse_order_21rocsparse_index_base_b,"axG",@progbits,_ZN9rocsparseL29bsrmmnt_small_blockdim_kernelILj64ELj8ELj2EiiDF16_DF16_ffEEv20rocsparse_direction_T3_S2_llNS_24const_host_device_scalarIT7_EEPKT2_PKS2_PKT4_PKT5_llS5_PT6_ll16rocsparse_order_21rocsparse_index_base_b,comdat
.Lfunc_end69:
	.size	_ZN9rocsparseL29bsrmmnt_small_blockdim_kernelILj64ELj8ELj2EiiDF16_DF16_ffEEv20rocsparse_direction_T3_S2_llNS_24const_host_device_scalarIT7_EEPKT2_PKS2_PKT4_PKT5_llS5_PT6_ll16rocsparse_order_21rocsparse_index_base_b, .Lfunc_end69-_ZN9rocsparseL29bsrmmnt_small_blockdim_kernelILj64ELj8ELj2EiiDF16_DF16_ffEEv20rocsparse_direction_T3_S2_llNS_24const_host_device_scalarIT7_EEPKT2_PKS2_PKT4_PKT5_llS5_PT6_ll16rocsparse_order_21rocsparse_index_base_b
                                        ; -- End function
	.section	.AMDGPU.csdata,"",@progbits
; Kernel info:
; codeLenInByte = 1428
; NumSgprs: 36
; NumVgprs: 37
; NumAgprs: 0
; TotalNumVgprs: 37
; ScratchSize: 0
; MemoryBound: 0
; FloatMode: 240
; IeeeMode: 1
; LDSByteSize: 640 bytes/workgroup (compile time only)
; SGPRBlocks: 4
; VGPRBlocks: 4
; NumSGPRsForWavesPerEU: 36
; NumVGPRsForWavesPerEU: 37
; AccumOffset: 40
; Occupancy: 8
; WaveLimiterHint : 0
; COMPUTE_PGM_RSRC2:SCRATCH_EN: 0
; COMPUTE_PGM_RSRC2:USER_SGPR: 6
; COMPUTE_PGM_RSRC2:TRAP_HANDLER: 0
; COMPUTE_PGM_RSRC2:TGID_X_EN: 1
; COMPUTE_PGM_RSRC2:TGID_Y_EN: 0
; COMPUTE_PGM_RSRC2:TGID_Z_EN: 0
; COMPUTE_PGM_RSRC2:TIDIG_COMP_CNT: 0
; COMPUTE_PGM_RSRC3_GFX90A:ACCUM_OFFSET: 9
; COMPUTE_PGM_RSRC3_GFX90A:TG_SPLIT: 0
	.section	.text._ZN9rocsparseL29bsrmmnt_small_blockdim_kernelILj64ELj16ELj2EiiDF16_DF16_ffEEv20rocsparse_direction_T3_S2_llNS_24const_host_device_scalarIT7_EEPKT2_PKS2_PKT4_PKT5_llS5_PT6_ll16rocsparse_order_21rocsparse_index_base_b,"axG",@progbits,_ZN9rocsparseL29bsrmmnt_small_blockdim_kernelILj64ELj16ELj2EiiDF16_DF16_ffEEv20rocsparse_direction_T3_S2_llNS_24const_host_device_scalarIT7_EEPKT2_PKS2_PKT4_PKT5_llS5_PT6_ll16rocsparse_order_21rocsparse_index_base_b,comdat
	.globl	_ZN9rocsparseL29bsrmmnt_small_blockdim_kernelILj64ELj16ELj2EiiDF16_DF16_ffEEv20rocsparse_direction_T3_S2_llNS_24const_host_device_scalarIT7_EEPKT2_PKS2_PKT4_PKT5_llS5_PT6_ll16rocsparse_order_21rocsparse_index_base_b ; -- Begin function _ZN9rocsparseL29bsrmmnt_small_blockdim_kernelILj64ELj16ELj2EiiDF16_DF16_ffEEv20rocsparse_direction_T3_S2_llNS_24const_host_device_scalarIT7_EEPKT2_PKS2_PKT4_PKT5_llS5_PT6_ll16rocsparse_order_21rocsparse_index_base_b
	.p2align	8
	.type	_ZN9rocsparseL29bsrmmnt_small_blockdim_kernelILj64ELj16ELj2EiiDF16_DF16_ffEEv20rocsparse_direction_T3_S2_llNS_24const_host_device_scalarIT7_EEPKT2_PKS2_PKT4_PKT5_llS5_PT6_ll16rocsparse_order_21rocsparse_index_base_b,@function
_ZN9rocsparseL29bsrmmnt_small_blockdim_kernelILj64ELj16ELj2EiiDF16_DF16_ffEEv20rocsparse_direction_T3_S2_llNS_24const_host_device_scalarIT7_EEPKT2_PKS2_PKT4_PKT5_llS5_PT6_ll16rocsparse_order_21rocsparse_index_base_b: ; @_ZN9rocsparseL29bsrmmnt_small_blockdim_kernelILj64ELj16ELj2EiiDF16_DF16_ffEEv20rocsparse_direction_T3_S2_llNS_24const_host_device_scalarIT7_EEPKT2_PKS2_PKT4_PKT5_llS5_PT6_ll16rocsparse_order_21rocsparse_index_base_b
; %bb.0:
	s_load_dwordx4 s[16:19], s[4:5], 0x78
	s_load_dwordx2 s[28:29], s[4:5], 0x20
	s_load_dwordx2 s[30:31], s[4:5], 0x58
	s_waitcnt lgkmcnt(0)
	s_bitcmp1_b32 s18, 0
	s_cselect_b64 s[2:3], -1, 0
	s_xor_b64 s[0:1], s[2:3], -1
	s_and_b64 vcc, exec, s[2:3]
	s_cbranch_vccnz .LBB70_2
; %bb.1:
	s_load_dword s28, s[28:29], 0x0
.LBB70_2:
	s_andn2_b64 vcc, exec, s[0:1]
	s_cbranch_vccnz .LBB70_4
; %bb.3:
	s_load_dword s30, s[30:31], 0x0
.LBB70_4:
	s_waitcnt lgkmcnt(0)
	v_cmp_eq_f32_e64 s[0:1], s28, 0
	v_cmp_eq_f32_e64 s[2:3], s30, 1.0
	s_and_b64 s[0:1], s[0:1], s[2:3]
	s_and_b64 vcc, exec, s[0:1]
	s_cbranch_vccnz .LBB70_30
; %bb.5:
	s_load_dword s0, s[4:5], 0x94
	s_load_dwordx4 s[20:23], s[4:5], 0x0
	s_waitcnt lgkmcnt(0)
	s_and_b32 s0, s0, 0xffff
	s_mul_i32 s6, s6, s0
	v_add_u32_e32 v1, s6, v0
	v_lshrrev_b32_e32 v2, 5, v1
	v_cmp_gt_i32_e32 vcc, s21, v2
	s_and_saveexec_b64 s[0:1], vcc
	s_cbranch_execz .LBB70_30
; %bb.6:
	s_cmp_lt_i32 s22, 1
	s_cbranch_scc1 .LBB70_30
; %bb.7:
	s_load_dwordx8 s[8:15], s[4:5], 0x28
	v_lshlrev_b32_e32 v2, 2, v2
	s_cmp_lg_u32 s16, 1
	v_and_b32_e32 v6, 15, v0
	v_lshrrev_b32_e32 v0, 4, v0
	s_waitcnt lgkmcnt(0)
	global_load_dwordx2 v[2:3], v2, s[8:9]
	s_load_dwordx4 s[24:27], s[4:5], 0x60
	s_load_dwordx2 s[6:7], s[4:5], 0x48
	v_mov_b32_e32 v5, 0x180
	s_cselect_b64 s[8:9], -1, 0
	s_cmp_eq_u32 s20, 0
	v_lshl_add_u32 v7, v0, 6, v5
	v_mul_u32_u24_e32 v5, 3, v6
	s_cselect_b64 s[0:1], -1, 0
	v_lshrrev_b32_e32 v14, 4, v1
	v_bfe_u32 v4, v1, 4, 1
	s_movk_i32 s2, 0x60
	v_lshlrev_b32_e32 v5, 1, v5
	v_cndmask_b32_e64 v11, 0, 1, s[0:1]
	v_mad_u32_u24 v10, v0, s2, v5
	s_and_b64 s[0:1], s[0:1], exec
	v_lshlrev_b32_e32 v11, v11, v4
	s_waitcnt lgkmcnt(0)
	v_mad_u64_u32 v[4:5], s[0:1], v14, s26, 0
	v_mov_b32_e32 v1, 0
	v_mul_u32_u24_e32 v8, 0x60, v0
	v_mov_b32_e32 v0, v5
	v_lshlrev_b32_e32 v12, 2, v14
	v_mad_u64_u32 v[14:15], s[0:1], v14, s27, v[0:1]
	v_mov_b32_e32 v16, s25
	v_add_co_u32_e32 v12, vcc, s24, v12
	v_mov_b32_e32 v5, v14
	v_addc_co_u32_e32 v13, vcc, 0, v16, vcc
	v_lshlrev_b64 v[4:5], 2, v[4:5]
	v_add_co_u32_e32 v14, vcc, s24, v4
	s_mov_b32 s16, 0
	v_cmp_neq_f32_e64 s[4:5], s30, 0
	v_lshl_or_b32 v9, v6, 2, v7
	s_cselect_b32 s23, 1, 2
	v_addc_co_u32_e32 v15, vcc, v16, v5, vcc
	s_mov_b32 s29, 0x5040100
	s_waitcnt vmcnt(0)
	v_subrev_u32_e32 v16, s17, v2
	v_subrev_u32_e32 v17, s17, v3
	v_cmp_lt_i32_e64 s[0:1], v2, v3
	s_branch .LBB70_9
.LBB70_8:                               ;   in Loop: Header=BB70_9 Depth=1
	s_or_b64 exec, exec, s[2:3]
	s_add_i32 s16, s16, 16
	s_cmp_lt_i32 s16, s22
	s_cbranch_scc0 .LBB70_30
.LBB70_9:                               ; =>This Loop Header: Depth=1
                                        ;     Child Loop BB70_12 Depth 2
                                        ;       Child Loop BB70_16 Depth 3
	v_or_b32_e32 v2, s16, v6
	v_ashrrev_i32_e32 v3, 31, v2
	v_mov_b32_e32 v18, v1
	s_and_saveexec_b64 s[18:19], s[0:1]
	s_cbranch_execz .LBB70_18
; %bb.10:                               ;   in Loop: Header=BB70_9 Depth=1
	v_lshlrev_b64 v[4:5], 1, v[2:3]
	v_mov_b32_e32 v0, s15
	v_add_co_u32_e64 v19, s[2:3], s14, v4
	v_cmp_gt_i32_e32 vcc, s22, v2
	v_addc_co_u32_e64 v20, s[2:3], v0, v5, s[2:3]
	s_mov_b64 s[20:21], 0
	v_mov_b32_e32 v18, 0
	v_mov_b32_e32 v21, v16
	s_branch .LBB70_12
.LBB70_11:                              ;   in Loop: Header=BB70_12 Depth=2
	s_or_b64 exec, exec, s[24:25]
	v_add_u32_e32 v21, 16, v21
	v_cmp_ge_i32_e64 s[2:3], v21, v17
	s_or_b64 s[20:21], s[2:3], s[20:21]
	s_andn2_b64 exec, exec, s[20:21]
	s_cbranch_execz .LBB70_17
.LBB70_12:                              ;   Parent Loop BB70_9 Depth=1
                                        ; =>  This Loop Header: Depth=2
                                        ;       Child Loop BB70_16 Depth 3
	v_add_u32_e32 v4, v21, v6
	v_cmp_lt_i32_e64 s[2:3], v4, v17
	v_mov_b32_e32 v0, 0
	v_mov_b32_e32 v5, 0
	s_and_saveexec_b64 s[24:25], s[2:3]
	s_cbranch_execz .LBB70_14
; %bb.13:                               ;   in Loop: Header=BB70_12 Depth=2
	v_ashrrev_i32_e32 v5, 31, v4
	v_lshlrev_b64 v[22:23], 2, v[4:5]
	v_mov_b32_e32 v0, s11
	v_add_co_u32_e64 v22, s[2:3], s10, v22
	v_addc_co_u32_e64 v23, s[2:3], v0, v23, s[2:3]
	v_lshl_or_b32 v0, v4, 2, v11
	v_lshlrev_b64 v[4:5], 1, v[0:1]
	v_mov_b32_e32 v25, s13
	v_add_co_u32_e64 v4, s[2:3], s12, v4
	v_or_b32_e32 v0, s23, v0
	global_load_dword v24, v[22:23], off
	v_addc_co_u32_e64 v5, s[2:3], v25, v5, s[2:3]
	v_lshlrev_b64 v[22:23], 1, v[0:1]
	v_add_co_u32_e64 v22, s[2:3], s12, v22
	v_addc_co_u32_e64 v23, s[2:3], v25, v23, s[2:3]
	global_load_ushort v25, v[4:5], off
	global_load_ushort v26, v[22:23], off
	s_waitcnt vmcnt(2)
	v_subrev_u32_e32 v0, s17, v24
	v_lshlrev_b32_e32 v0, 1, v0
	s_waitcnt vmcnt(0)
	v_perm_b32 v5, v26, v25, s29
.LBB70_14:                              ;   in Loop: Header=BB70_12 Depth=2
	s_or_b64 exec, exec, s[24:25]
	ds_write_b32 v9, v0
	ds_write_b32 v10, v5
	s_waitcnt lgkmcnt(0)
	; wave barrier
	s_waitcnt lgkmcnt(0)
	s_and_saveexec_b64 s[24:25], vcc
	s_cbranch_execz .LBB70_11
; %bb.15:                               ;   in Loop: Header=BB70_12 Depth=2
	s_mov_b32 s31, 0
	v_mov_b32_e32 v0, v8
.LBB70_16:                              ;   Parent Loop BB70_9 Depth=1
                                        ;     Parent Loop BB70_12 Depth=2
                                        ; =>    This Inner Loop Header: Depth=3
	v_add_u32_e32 v4, s31, v7
	ds_read_b64 v[4:5], v4
	s_add_i32 s31, s31, 8
	s_cmp_lg_u32 s31, 64
	s_waitcnt lgkmcnt(0)
	v_ashrrev_i32_e32 v26, 31, v4
	v_mul_lo_u32 v28, v4, s7
	v_mad_u64_u32 v[22:23], s[2:3], v4, s6, 0
	v_mul_lo_u32 v31, v26, s6
	v_add_u32_e32 v4, 1, v4
	v_ashrrev_i32_e32 v27, 31, v5
	v_add_u32_e32 v30, 1, v5
	v_add3_u32 v23, v23, v28, v31
	v_mul_lo_u32 v29, v5, s7
	v_mad_u64_u32 v[24:25], s[2:3], v5, s6, 0
	v_ashrrev_i32_e32 v32, 31, v4
	v_mul_lo_u32 v33, v4, s7
	v_mad_u64_u32 v[4:5], s[2:3], v4, s6, 0
	v_mul_lo_u32 v34, v27, s6
	v_mad_u64_u32 v[26:27], s[2:3], v30, s6, 0
	v_lshlrev_b64 v[22:23], 1, v[22:23]
	v_add3_u32 v25, v25, v29, v34
	v_add_co_u32_e64 v22, s[2:3], v19, v22
	v_mul_lo_u32 v28, v32, s6
	v_lshlrev_b64 v[24:25], 1, v[24:25]
	v_addc_co_u32_e64 v23, s[2:3], v20, v23, s[2:3]
	v_ashrrev_i32_e32 v35, 31, v30
	v_add3_u32 v5, v5, v33, v28
	v_add_co_u32_e64 v24, s[2:3], v19, v24
	v_mul_lo_u32 v36, v30, s7
	v_mul_lo_u32 v29, v35, s6
	v_lshlrev_b64 v[4:5], 1, v[4:5]
	v_addc_co_u32_e64 v25, s[2:3], v20, v25, s[2:3]
	v_add3_u32 v27, v27, v36, v29
	v_add_co_u32_e64 v4, s[2:3], v19, v4
	v_lshlrev_b64 v[26:27], 1, v[26:27]
	v_addc_co_u32_e64 v5, s[2:3], v20, v5, s[2:3]
	v_add_co_u32_e64 v26, s[2:3], v19, v26
	v_addc_co_u32_e64 v27, s[2:3], v20, v27, s[2:3]
	global_load_ushort v28, v[22:23], off
	global_load_ushort v29, v[4:5], off
	;; [unrolled: 1-line block ×4, first 2 shown]
	ds_read_b32 v4, v0
	ds_read_u16 v5, v0 offset:6
	ds_read_u16 v22, v0 offset:8
	v_add_u32_e32 v0, 12, v0
	s_waitcnt vmcnt(3) lgkmcnt(2)
	v_fma_mix_f32 v18, v4, v28, v18 op_sel_hi:[1,1,0]
	s_waitcnt vmcnt(2)
	v_fma_mix_f32 v4, v4, v29, v18 op_sel:[1,0,0] op_sel_hi:[1,1,0]
	s_waitcnt vmcnt(1) lgkmcnt(1)
	v_fma_mix_f32 v4, v5, v30, v4 op_sel_hi:[1,1,0]
	s_waitcnt vmcnt(0) lgkmcnt(0)
	v_fma_mix_f32 v18, v22, v31, v4 op_sel_hi:[1,1,0]
	s_cbranch_scc1 .LBB70_16
	s_branch .LBB70_11
.LBB70_17:                              ;   in Loop: Header=BB70_9 Depth=1
	s_or_b64 exec, exec, s[20:21]
.LBB70_18:                              ;   in Loop: Header=BB70_9 Depth=1
	s_or_b64 exec, exec, s[18:19]
	v_cmp_gt_i32_e32 vcc, s22, v2
	s_and_saveexec_b64 s[2:3], vcc
	s_cbranch_execz .LBB70_8
; %bb.19:                               ;   in Loop: Header=BB70_9 Depth=1
	s_mov_b64 s[18:19], -1
	s_and_b64 vcc, exec, s[4:5]
	s_cbranch_vccz .LBB70_25
; %bb.20:                               ;   in Loop: Header=BB70_9 Depth=1
	s_and_b64 vcc, exec, s[8:9]
	s_cbranch_vccz .LBB70_22
; %bb.21:                               ;   in Loop: Header=BB70_9 Depth=1
	v_lshlrev_b64 v[4:5], 2, v[2:3]
	v_add_co_u32_e32 v4, vcc, v14, v4
	v_addc_co_u32_e32 v5, vcc, v15, v5, vcc
	global_load_dword v0, v[4:5], off
	v_mul_f32_e32 v19, s28, v18
	s_mov_b64 s[18:19], 0
	s_waitcnt vmcnt(0)
	v_fmac_f32_e32 v19, s30, v0
	global_store_dword v[4:5], v19, off
.LBB70_22:                              ;   in Loop: Header=BB70_9 Depth=1
	s_andn2_b64 vcc, exec, s[18:19]
	s_cbranch_vccnz .LBB70_24
; %bb.23:                               ;   in Loop: Header=BB70_9 Depth=1
	v_mul_lo_u32 v0, v3, s26
	v_mul_lo_u32 v19, v2, s27
	v_mad_u64_u32 v[4:5], s[18:19], v2, s26, 0
	v_add3_u32 v5, v5, v19, v0
	v_lshlrev_b64 v[4:5], 2, v[4:5]
	v_add_co_u32_e32 v4, vcc, v12, v4
	v_addc_co_u32_e32 v5, vcc, v13, v5, vcc
	global_load_dword v0, v[4:5], off
	v_mul_f32_e32 v19, s28, v18
	s_waitcnt vmcnt(0)
	v_fmac_f32_e32 v19, s30, v0
	global_store_dword v[4:5], v19, off
.LBB70_24:                              ;   in Loop: Header=BB70_9 Depth=1
	s_mov_b64 s[18:19], 0
.LBB70_25:                              ;   in Loop: Header=BB70_9 Depth=1
	s_andn2_b64 vcc, exec, s[18:19]
	s_cbranch_vccnz .LBB70_8
; %bb.26:                               ;   in Loop: Header=BB70_9 Depth=1
	v_mul_f32_e32 v0, s28, v18
	s_mov_b64 s[18:19], -1
	s_and_b64 vcc, exec, s[8:9]
	s_cbranch_vccz .LBB70_28
; %bb.27:                               ;   in Loop: Header=BB70_9 Depth=1
	v_lshlrev_b64 v[4:5], 2, v[2:3]
	v_add_co_u32_e32 v4, vcc, v14, v4
	v_addc_co_u32_e32 v5, vcc, v15, v5, vcc
	global_store_dword v[4:5], v0, off
	s_mov_b64 s[18:19], 0
.LBB70_28:                              ;   in Loop: Header=BB70_9 Depth=1
	s_andn2_b64 vcc, exec, s[18:19]
	s_cbranch_vccnz .LBB70_8
; %bb.29:                               ;   in Loop: Header=BB70_9 Depth=1
	v_mul_lo_u32 v4, v3, s26
	v_mul_lo_u32 v5, v2, s27
	v_mad_u64_u32 v[2:3], s[18:19], v2, s26, 0
	v_add3_u32 v3, v3, v5, v4
	v_lshlrev_b64 v[2:3], 2, v[2:3]
	v_add_co_u32_e32 v2, vcc, v12, v2
	v_addc_co_u32_e32 v3, vcc, v13, v3, vcc
	global_store_dword v[2:3], v0, off
	s_branch .LBB70_8
.LBB70_30:
	s_endpgm
	.section	.rodata,"a",@progbits
	.p2align	6, 0x0
	.amdhsa_kernel _ZN9rocsparseL29bsrmmnt_small_blockdim_kernelILj64ELj16ELj2EiiDF16_DF16_ffEEv20rocsparse_direction_T3_S2_llNS_24const_host_device_scalarIT7_EEPKT2_PKS2_PKT4_PKT5_llS5_PT6_ll16rocsparse_order_21rocsparse_index_base_b
		.amdhsa_group_segment_fixed_size 640
		.amdhsa_private_segment_fixed_size 0
		.amdhsa_kernarg_size 392
		.amdhsa_user_sgpr_count 6
		.amdhsa_user_sgpr_private_segment_buffer 1
		.amdhsa_user_sgpr_dispatch_ptr 0
		.amdhsa_user_sgpr_queue_ptr 0
		.amdhsa_user_sgpr_kernarg_segment_ptr 1
		.amdhsa_user_sgpr_dispatch_id 0
		.amdhsa_user_sgpr_flat_scratch_init 0
		.amdhsa_user_sgpr_kernarg_preload_length 0
		.amdhsa_user_sgpr_kernarg_preload_offset 0
		.amdhsa_user_sgpr_private_segment_size 0
		.amdhsa_uses_dynamic_stack 0
		.amdhsa_system_sgpr_private_segment_wavefront_offset 0
		.amdhsa_system_sgpr_workgroup_id_x 1
		.amdhsa_system_sgpr_workgroup_id_y 0
		.amdhsa_system_sgpr_workgroup_id_z 0
		.amdhsa_system_sgpr_workgroup_info 0
		.amdhsa_system_vgpr_workitem_id 0
		.amdhsa_next_free_vgpr 37
		.amdhsa_next_free_sgpr 32
		.amdhsa_accum_offset 40
		.amdhsa_reserve_vcc 1
		.amdhsa_reserve_flat_scratch 0
		.amdhsa_float_round_mode_32 0
		.amdhsa_float_round_mode_16_64 0
		.amdhsa_float_denorm_mode_32 3
		.amdhsa_float_denorm_mode_16_64 3
		.amdhsa_dx10_clamp 1
		.amdhsa_ieee_mode 1
		.amdhsa_fp16_overflow 0
		.amdhsa_tg_split 0
		.amdhsa_exception_fp_ieee_invalid_op 0
		.amdhsa_exception_fp_denorm_src 0
		.amdhsa_exception_fp_ieee_div_zero 0
		.amdhsa_exception_fp_ieee_overflow 0
		.amdhsa_exception_fp_ieee_underflow 0
		.amdhsa_exception_fp_ieee_inexact 0
		.amdhsa_exception_int_div_zero 0
	.end_amdhsa_kernel
	.section	.text._ZN9rocsparseL29bsrmmnt_small_blockdim_kernelILj64ELj16ELj2EiiDF16_DF16_ffEEv20rocsparse_direction_T3_S2_llNS_24const_host_device_scalarIT7_EEPKT2_PKS2_PKT4_PKT5_llS5_PT6_ll16rocsparse_order_21rocsparse_index_base_b,"axG",@progbits,_ZN9rocsparseL29bsrmmnt_small_blockdim_kernelILj64ELj16ELj2EiiDF16_DF16_ffEEv20rocsparse_direction_T3_S2_llNS_24const_host_device_scalarIT7_EEPKT2_PKS2_PKT4_PKT5_llS5_PT6_ll16rocsparse_order_21rocsparse_index_base_b,comdat
.Lfunc_end70:
	.size	_ZN9rocsparseL29bsrmmnt_small_blockdim_kernelILj64ELj16ELj2EiiDF16_DF16_ffEEv20rocsparse_direction_T3_S2_llNS_24const_host_device_scalarIT7_EEPKT2_PKS2_PKT4_PKT5_llS5_PT6_ll16rocsparse_order_21rocsparse_index_base_b, .Lfunc_end70-_ZN9rocsparseL29bsrmmnt_small_blockdim_kernelILj64ELj16ELj2EiiDF16_DF16_ffEEv20rocsparse_direction_T3_S2_llNS_24const_host_device_scalarIT7_EEPKT2_PKS2_PKT4_PKT5_llS5_PT6_ll16rocsparse_order_21rocsparse_index_base_b
                                        ; -- End function
	.section	.AMDGPU.csdata,"",@progbits
; Kernel info:
; codeLenInByte = 1436
; NumSgprs: 36
; NumVgprs: 37
; NumAgprs: 0
; TotalNumVgprs: 37
; ScratchSize: 0
; MemoryBound: 0
; FloatMode: 240
; IeeeMode: 1
; LDSByteSize: 640 bytes/workgroup (compile time only)
; SGPRBlocks: 4
; VGPRBlocks: 4
; NumSGPRsForWavesPerEU: 36
; NumVGPRsForWavesPerEU: 37
; AccumOffset: 40
; Occupancy: 8
; WaveLimiterHint : 0
; COMPUTE_PGM_RSRC2:SCRATCH_EN: 0
; COMPUTE_PGM_RSRC2:USER_SGPR: 6
; COMPUTE_PGM_RSRC2:TRAP_HANDLER: 0
; COMPUTE_PGM_RSRC2:TGID_X_EN: 1
; COMPUTE_PGM_RSRC2:TGID_Y_EN: 0
; COMPUTE_PGM_RSRC2:TGID_Z_EN: 0
; COMPUTE_PGM_RSRC2:TIDIG_COMP_CNT: 0
; COMPUTE_PGM_RSRC3_GFX90A:ACCUM_OFFSET: 9
; COMPUTE_PGM_RSRC3_GFX90A:TG_SPLIT: 0
	.section	.text._ZN9rocsparseL29bsrmmnt_small_blockdim_kernelILj64ELj32ELj2EiiDF16_DF16_ffEEv20rocsparse_direction_T3_S2_llNS_24const_host_device_scalarIT7_EEPKT2_PKS2_PKT4_PKT5_llS5_PT6_ll16rocsparse_order_21rocsparse_index_base_b,"axG",@progbits,_ZN9rocsparseL29bsrmmnt_small_blockdim_kernelILj64ELj32ELj2EiiDF16_DF16_ffEEv20rocsparse_direction_T3_S2_llNS_24const_host_device_scalarIT7_EEPKT2_PKS2_PKT4_PKT5_llS5_PT6_ll16rocsparse_order_21rocsparse_index_base_b,comdat
	.globl	_ZN9rocsparseL29bsrmmnt_small_blockdim_kernelILj64ELj32ELj2EiiDF16_DF16_ffEEv20rocsparse_direction_T3_S2_llNS_24const_host_device_scalarIT7_EEPKT2_PKS2_PKT4_PKT5_llS5_PT6_ll16rocsparse_order_21rocsparse_index_base_b ; -- Begin function _ZN9rocsparseL29bsrmmnt_small_blockdim_kernelILj64ELj32ELj2EiiDF16_DF16_ffEEv20rocsparse_direction_T3_S2_llNS_24const_host_device_scalarIT7_EEPKT2_PKS2_PKT4_PKT5_llS5_PT6_ll16rocsparse_order_21rocsparse_index_base_b
	.p2align	8
	.type	_ZN9rocsparseL29bsrmmnt_small_blockdim_kernelILj64ELj32ELj2EiiDF16_DF16_ffEEv20rocsparse_direction_T3_S2_llNS_24const_host_device_scalarIT7_EEPKT2_PKS2_PKT4_PKT5_llS5_PT6_ll16rocsparse_order_21rocsparse_index_base_b,@function
_ZN9rocsparseL29bsrmmnt_small_blockdim_kernelILj64ELj32ELj2EiiDF16_DF16_ffEEv20rocsparse_direction_T3_S2_llNS_24const_host_device_scalarIT7_EEPKT2_PKS2_PKT4_PKT5_llS5_PT6_ll16rocsparse_order_21rocsparse_index_base_b: ; @_ZN9rocsparseL29bsrmmnt_small_blockdim_kernelILj64ELj32ELj2EiiDF16_DF16_ffEEv20rocsparse_direction_T3_S2_llNS_24const_host_device_scalarIT7_EEPKT2_PKS2_PKT4_PKT5_llS5_PT6_ll16rocsparse_order_21rocsparse_index_base_b
; %bb.0:
	s_load_dwordx4 s[16:19], s[4:5], 0x78
	s_load_dwordx2 s[28:29], s[4:5], 0x20
	s_load_dwordx2 s[30:31], s[4:5], 0x58
	s_waitcnt lgkmcnt(0)
	s_bitcmp1_b32 s18, 0
	s_cselect_b64 s[2:3], -1, 0
	s_xor_b64 s[0:1], s[2:3], -1
	s_and_b64 vcc, exec, s[2:3]
	s_cbranch_vccnz .LBB71_2
; %bb.1:
	s_load_dword s28, s[28:29], 0x0
.LBB71_2:
	s_andn2_b64 vcc, exec, s[0:1]
	s_cbranch_vccnz .LBB71_4
; %bb.3:
	s_load_dword s30, s[30:31], 0x0
.LBB71_4:
	s_waitcnt lgkmcnt(0)
	v_cmp_eq_f32_e64 s[0:1], s28, 0
	v_cmp_eq_f32_e64 s[2:3], s30, 1.0
	s_and_b64 s[0:1], s[0:1], s[2:3]
	s_and_b64 vcc, exec, s[0:1]
	s_cbranch_vccnz .LBB71_30
; %bb.5:
	s_load_dword s0, s[4:5], 0x94
	s_load_dwordx4 s[20:23], s[4:5], 0x0
	s_waitcnt lgkmcnt(0)
	s_and_b32 s0, s0, 0xffff
	s_mul_i32 s6, s6, s0
	v_add_u32_e32 v1, s6, v0
	v_lshrrev_b32_e32 v2, 6, v1
	v_cmp_gt_i32_e32 vcc, s21, v2
	s_and_saveexec_b64 s[0:1], vcc
	s_cbranch_execz .LBB71_30
; %bb.6:
	s_cmp_lt_i32 s22, 1
	s_cbranch_scc1 .LBB71_30
; %bb.7:
	s_load_dwordx8 s[8:15], s[4:5], 0x28
	v_lshlrev_b32_e32 v2, 2, v2
	s_cmp_lg_u32 s16, 1
	v_and_b32_e32 v6, 31, v0
	v_lshrrev_b32_e32 v0, 5, v0
	s_waitcnt lgkmcnt(0)
	global_load_dwordx2 v[2:3], v2, s[8:9]
	s_load_dwordx4 s[24:27], s[4:5], 0x60
	s_load_dwordx2 s[6:7], s[4:5], 0x48
	v_mov_b32_e32 v5, 0x180
	s_cselect_b64 s[8:9], -1, 0
	s_cmp_eq_u32 s20, 0
	v_lshl_add_u32 v7, v0, 7, v5
	v_mul_u32_u24_e32 v5, 3, v6
	s_cselect_b64 s[0:1], -1, 0
	v_lshrrev_b32_e32 v14, 5, v1
	v_bfe_u32 v4, v1, 5, 1
	s_movk_i32 s2, 0xc0
	v_lshlrev_b32_e32 v5, 1, v5
	v_cndmask_b32_e64 v11, 0, 1, s[0:1]
	v_mad_u32_u24 v10, v0, s2, v5
	s_and_b64 s[0:1], s[0:1], exec
	v_lshlrev_b32_e32 v11, v11, v4
	s_waitcnt lgkmcnt(0)
	v_mad_u64_u32 v[4:5], s[0:1], v14, s26, 0
	v_mov_b32_e32 v1, 0
	v_mul_u32_u24_e32 v8, 0xc0, v0
	v_mov_b32_e32 v0, v5
	v_lshlrev_b32_e32 v12, 2, v14
	v_mad_u64_u32 v[14:15], s[0:1], v14, s27, v[0:1]
	v_mov_b32_e32 v16, s25
	v_add_co_u32_e32 v12, vcc, s24, v12
	v_mov_b32_e32 v5, v14
	v_addc_co_u32_e32 v13, vcc, 0, v16, vcc
	v_lshlrev_b64 v[4:5], 2, v[4:5]
	v_add_co_u32_e32 v14, vcc, s24, v4
	s_mov_b32 s16, 0
	v_cmp_neq_f32_e64 s[4:5], s30, 0
	v_lshl_or_b32 v9, v6, 2, v7
	s_cselect_b32 s23, 1, 2
	v_addc_co_u32_e32 v15, vcc, v16, v5, vcc
	s_mov_b32 s29, 0x5040100
	s_waitcnt vmcnt(0)
	v_subrev_u32_e32 v16, s17, v2
	v_subrev_u32_e32 v17, s17, v3
	v_cmp_lt_i32_e64 s[0:1], v2, v3
	s_branch .LBB71_9
.LBB71_8:                               ;   in Loop: Header=BB71_9 Depth=1
	s_or_b64 exec, exec, s[2:3]
	s_add_i32 s16, s16, 32
	s_cmp_lt_i32 s16, s22
	s_cbranch_scc0 .LBB71_30
.LBB71_9:                               ; =>This Loop Header: Depth=1
                                        ;     Child Loop BB71_12 Depth 2
                                        ;       Child Loop BB71_16 Depth 3
	v_or_b32_e32 v2, s16, v6
	v_ashrrev_i32_e32 v3, 31, v2
	v_mov_b32_e32 v18, v1
	s_and_saveexec_b64 s[18:19], s[0:1]
	s_cbranch_execz .LBB71_18
; %bb.10:                               ;   in Loop: Header=BB71_9 Depth=1
	v_lshlrev_b64 v[4:5], 1, v[2:3]
	v_mov_b32_e32 v0, s15
	v_add_co_u32_e64 v19, s[2:3], s14, v4
	v_cmp_gt_i32_e32 vcc, s22, v2
	v_addc_co_u32_e64 v20, s[2:3], v0, v5, s[2:3]
	s_mov_b64 s[20:21], 0
	v_mov_b32_e32 v18, 0
	v_mov_b32_e32 v21, v16
	s_branch .LBB71_12
.LBB71_11:                              ;   in Loop: Header=BB71_12 Depth=2
	s_or_b64 exec, exec, s[24:25]
	v_add_u32_e32 v21, 32, v21
	v_cmp_ge_i32_e64 s[2:3], v21, v17
	s_or_b64 s[20:21], s[2:3], s[20:21]
	s_andn2_b64 exec, exec, s[20:21]
	s_cbranch_execz .LBB71_17
.LBB71_12:                              ;   Parent Loop BB71_9 Depth=1
                                        ; =>  This Loop Header: Depth=2
                                        ;       Child Loop BB71_16 Depth 3
	v_add_u32_e32 v4, v21, v6
	v_cmp_lt_i32_e64 s[2:3], v4, v17
	v_mov_b32_e32 v0, 0
	v_mov_b32_e32 v5, 0
	s_and_saveexec_b64 s[24:25], s[2:3]
	s_cbranch_execz .LBB71_14
; %bb.13:                               ;   in Loop: Header=BB71_12 Depth=2
	v_ashrrev_i32_e32 v5, 31, v4
	v_lshlrev_b64 v[22:23], 2, v[4:5]
	v_mov_b32_e32 v0, s11
	v_add_co_u32_e64 v22, s[2:3], s10, v22
	v_addc_co_u32_e64 v23, s[2:3], v0, v23, s[2:3]
	v_lshl_or_b32 v0, v4, 2, v11
	v_lshlrev_b64 v[4:5], 1, v[0:1]
	v_mov_b32_e32 v25, s13
	v_add_co_u32_e64 v4, s[2:3], s12, v4
	v_or_b32_e32 v0, s23, v0
	global_load_dword v24, v[22:23], off
	v_addc_co_u32_e64 v5, s[2:3], v25, v5, s[2:3]
	v_lshlrev_b64 v[22:23], 1, v[0:1]
	v_add_co_u32_e64 v22, s[2:3], s12, v22
	v_addc_co_u32_e64 v23, s[2:3], v25, v23, s[2:3]
	global_load_ushort v25, v[4:5], off
	global_load_ushort v26, v[22:23], off
	s_waitcnt vmcnt(2)
	v_subrev_u32_e32 v0, s17, v24
	v_lshlrev_b32_e32 v0, 1, v0
	s_waitcnt vmcnt(0)
	v_perm_b32 v5, v26, v25, s29
.LBB71_14:                              ;   in Loop: Header=BB71_12 Depth=2
	s_or_b64 exec, exec, s[24:25]
	ds_write_b32 v9, v0
	ds_write_b32 v10, v5
	s_waitcnt lgkmcnt(0)
	; wave barrier
	s_waitcnt lgkmcnt(0)
	s_and_saveexec_b64 s[24:25], vcc
	s_cbranch_execz .LBB71_11
; %bb.15:                               ;   in Loop: Header=BB71_12 Depth=2
	s_mov_b32 s31, 0
	v_mov_b32_e32 v0, v8
.LBB71_16:                              ;   Parent Loop BB71_9 Depth=1
                                        ;     Parent Loop BB71_12 Depth=2
                                        ; =>    This Inner Loop Header: Depth=3
	v_add_u32_e32 v4, s31, v7
	ds_read_b64 v[4:5], v4
	s_add_i32 s31, s31, 8
	s_cmpk_lg_i32 s31, 0x80
	s_waitcnt lgkmcnt(0)
	v_ashrrev_i32_e32 v26, 31, v4
	v_mul_lo_u32 v28, v4, s7
	v_mad_u64_u32 v[22:23], s[2:3], v4, s6, 0
	v_mul_lo_u32 v31, v26, s6
	v_add_u32_e32 v4, 1, v4
	v_ashrrev_i32_e32 v27, 31, v5
	v_add_u32_e32 v30, 1, v5
	v_add3_u32 v23, v23, v28, v31
	v_mul_lo_u32 v29, v5, s7
	v_mad_u64_u32 v[24:25], s[2:3], v5, s6, 0
	v_ashrrev_i32_e32 v32, 31, v4
	v_mul_lo_u32 v33, v4, s7
	v_mad_u64_u32 v[4:5], s[2:3], v4, s6, 0
	v_mul_lo_u32 v34, v27, s6
	v_mad_u64_u32 v[26:27], s[2:3], v30, s6, 0
	v_lshlrev_b64 v[22:23], 1, v[22:23]
	v_add3_u32 v25, v25, v29, v34
	v_add_co_u32_e64 v22, s[2:3], v19, v22
	v_mul_lo_u32 v28, v32, s6
	v_lshlrev_b64 v[24:25], 1, v[24:25]
	v_addc_co_u32_e64 v23, s[2:3], v20, v23, s[2:3]
	v_ashrrev_i32_e32 v35, 31, v30
	v_add3_u32 v5, v5, v33, v28
	v_add_co_u32_e64 v24, s[2:3], v19, v24
	v_mul_lo_u32 v36, v30, s7
	v_mul_lo_u32 v29, v35, s6
	v_lshlrev_b64 v[4:5], 1, v[4:5]
	v_addc_co_u32_e64 v25, s[2:3], v20, v25, s[2:3]
	v_add3_u32 v27, v27, v36, v29
	v_add_co_u32_e64 v4, s[2:3], v19, v4
	v_lshlrev_b64 v[26:27], 1, v[26:27]
	v_addc_co_u32_e64 v5, s[2:3], v20, v5, s[2:3]
	v_add_co_u32_e64 v26, s[2:3], v19, v26
	v_addc_co_u32_e64 v27, s[2:3], v20, v27, s[2:3]
	global_load_ushort v28, v[22:23], off
	global_load_ushort v29, v[4:5], off
	;; [unrolled: 1-line block ×4, first 2 shown]
	ds_read_b32 v4, v0
	ds_read_u16 v5, v0 offset:6
	ds_read_u16 v22, v0 offset:8
	v_add_u32_e32 v0, 12, v0
	s_waitcnt vmcnt(3) lgkmcnt(2)
	v_fma_mix_f32 v18, v4, v28, v18 op_sel_hi:[1,1,0]
	s_waitcnt vmcnt(2)
	v_fma_mix_f32 v4, v4, v29, v18 op_sel:[1,0,0] op_sel_hi:[1,1,0]
	s_waitcnt vmcnt(1) lgkmcnt(1)
	v_fma_mix_f32 v4, v5, v30, v4 op_sel_hi:[1,1,0]
	s_waitcnt vmcnt(0) lgkmcnt(0)
	v_fma_mix_f32 v18, v22, v31, v4 op_sel_hi:[1,1,0]
	s_cbranch_scc1 .LBB71_16
	s_branch .LBB71_11
.LBB71_17:                              ;   in Loop: Header=BB71_9 Depth=1
	s_or_b64 exec, exec, s[20:21]
.LBB71_18:                              ;   in Loop: Header=BB71_9 Depth=1
	s_or_b64 exec, exec, s[18:19]
	v_cmp_gt_i32_e32 vcc, s22, v2
	s_and_saveexec_b64 s[2:3], vcc
	s_cbranch_execz .LBB71_8
; %bb.19:                               ;   in Loop: Header=BB71_9 Depth=1
	s_mov_b64 s[18:19], -1
	s_and_b64 vcc, exec, s[4:5]
	s_cbranch_vccz .LBB71_25
; %bb.20:                               ;   in Loop: Header=BB71_9 Depth=1
	s_and_b64 vcc, exec, s[8:9]
	s_cbranch_vccz .LBB71_22
; %bb.21:                               ;   in Loop: Header=BB71_9 Depth=1
	v_lshlrev_b64 v[4:5], 2, v[2:3]
	v_add_co_u32_e32 v4, vcc, v14, v4
	v_addc_co_u32_e32 v5, vcc, v15, v5, vcc
	global_load_dword v0, v[4:5], off
	v_mul_f32_e32 v19, s28, v18
	s_mov_b64 s[18:19], 0
	s_waitcnt vmcnt(0)
	v_fmac_f32_e32 v19, s30, v0
	global_store_dword v[4:5], v19, off
.LBB71_22:                              ;   in Loop: Header=BB71_9 Depth=1
	s_andn2_b64 vcc, exec, s[18:19]
	s_cbranch_vccnz .LBB71_24
; %bb.23:                               ;   in Loop: Header=BB71_9 Depth=1
	v_mul_lo_u32 v0, v3, s26
	v_mul_lo_u32 v19, v2, s27
	v_mad_u64_u32 v[4:5], s[18:19], v2, s26, 0
	v_add3_u32 v5, v5, v19, v0
	v_lshlrev_b64 v[4:5], 2, v[4:5]
	v_add_co_u32_e32 v4, vcc, v12, v4
	v_addc_co_u32_e32 v5, vcc, v13, v5, vcc
	global_load_dword v0, v[4:5], off
	v_mul_f32_e32 v19, s28, v18
	s_waitcnt vmcnt(0)
	v_fmac_f32_e32 v19, s30, v0
	global_store_dword v[4:5], v19, off
.LBB71_24:                              ;   in Loop: Header=BB71_9 Depth=1
	s_mov_b64 s[18:19], 0
.LBB71_25:                              ;   in Loop: Header=BB71_9 Depth=1
	s_andn2_b64 vcc, exec, s[18:19]
	s_cbranch_vccnz .LBB71_8
; %bb.26:                               ;   in Loop: Header=BB71_9 Depth=1
	v_mul_f32_e32 v0, s28, v18
	s_mov_b64 s[18:19], -1
	s_and_b64 vcc, exec, s[8:9]
	s_cbranch_vccz .LBB71_28
; %bb.27:                               ;   in Loop: Header=BB71_9 Depth=1
	v_lshlrev_b64 v[4:5], 2, v[2:3]
	v_add_co_u32_e32 v4, vcc, v14, v4
	v_addc_co_u32_e32 v5, vcc, v15, v5, vcc
	global_store_dword v[4:5], v0, off
	s_mov_b64 s[18:19], 0
.LBB71_28:                              ;   in Loop: Header=BB71_9 Depth=1
	s_andn2_b64 vcc, exec, s[18:19]
	s_cbranch_vccnz .LBB71_8
; %bb.29:                               ;   in Loop: Header=BB71_9 Depth=1
	v_mul_lo_u32 v4, v3, s26
	v_mul_lo_u32 v5, v2, s27
	v_mad_u64_u32 v[2:3], s[18:19], v2, s26, 0
	v_add3_u32 v3, v3, v5, v4
	v_lshlrev_b64 v[2:3], 2, v[2:3]
	v_add_co_u32_e32 v2, vcc, v12, v2
	v_addc_co_u32_e32 v3, vcc, v13, v3, vcc
	global_store_dword v[2:3], v0, off
	s_branch .LBB71_8
.LBB71_30:
	s_endpgm
	.section	.rodata,"a",@progbits
	.p2align	6, 0x0
	.amdhsa_kernel _ZN9rocsparseL29bsrmmnt_small_blockdim_kernelILj64ELj32ELj2EiiDF16_DF16_ffEEv20rocsparse_direction_T3_S2_llNS_24const_host_device_scalarIT7_EEPKT2_PKS2_PKT4_PKT5_llS5_PT6_ll16rocsparse_order_21rocsparse_index_base_b
		.amdhsa_group_segment_fixed_size 640
		.amdhsa_private_segment_fixed_size 0
		.amdhsa_kernarg_size 392
		.amdhsa_user_sgpr_count 6
		.amdhsa_user_sgpr_private_segment_buffer 1
		.amdhsa_user_sgpr_dispatch_ptr 0
		.amdhsa_user_sgpr_queue_ptr 0
		.amdhsa_user_sgpr_kernarg_segment_ptr 1
		.amdhsa_user_sgpr_dispatch_id 0
		.amdhsa_user_sgpr_flat_scratch_init 0
		.amdhsa_user_sgpr_kernarg_preload_length 0
		.amdhsa_user_sgpr_kernarg_preload_offset 0
		.amdhsa_user_sgpr_private_segment_size 0
		.amdhsa_uses_dynamic_stack 0
		.amdhsa_system_sgpr_private_segment_wavefront_offset 0
		.amdhsa_system_sgpr_workgroup_id_x 1
		.amdhsa_system_sgpr_workgroup_id_y 0
		.amdhsa_system_sgpr_workgroup_id_z 0
		.amdhsa_system_sgpr_workgroup_info 0
		.amdhsa_system_vgpr_workitem_id 0
		.amdhsa_next_free_vgpr 37
		.amdhsa_next_free_sgpr 32
		.amdhsa_accum_offset 40
		.amdhsa_reserve_vcc 1
		.amdhsa_reserve_flat_scratch 0
		.amdhsa_float_round_mode_32 0
		.amdhsa_float_round_mode_16_64 0
		.amdhsa_float_denorm_mode_32 3
		.amdhsa_float_denorm_mode_16_64 3
		.amdhsa_dx10_clamp 1
		.amdhsa_ieee_mode 1
		.amdhsa_fp16_overflow 0
		.amdhsa_tg_split 0
		.amdhsa_exception_fp_ieee_invalid_op 0
		.amdhsa_exception_fp_denorm_src 0
		.amdhsa_exception_fp_ieee_div_zero 0
		.amdhsa_exception_fp_ieee_overflow 0
		.amdhsa_exception_fp_ieee_underflow 0
		.amdhsa_exception_fp_ieee_inexact 0
		.amdhsa_exception_int_div_zero 0
	.end_amdhsa_kernel
	.section	.text._ZN9rocsparseL29bsrmmnt_small_blockdim_kernelILj64ELj32ELj2EiiDF16_DF16_ffEEv20rocsparse_direction_T3_S2_llNS_24const_host_device_scalarIT7_EEPKT2_PKS2_PKT4_PKT5_llS5_PT6_ll16rocsparse_order_21rocsparse_index_base_b,"axG",@progbits,_ZN9rocsparseL29bsrmmnt_small_blockdim_kernelILj64ELj32ELj2EiiDF16_DF16_ffEEv20rocsparse_direction_T3_S2_llNS_24const_host_device_scalarIT7_EEPKT2_PKS2_PKT4_PKT5_llS5_PT6_ll16rocsparse_order_21rocsparse_index_base_b,comdat
.Lfunc_end71:
	.size	_ZN9rocsparseL29bsrmmnt_small_blockdim_kernelILj64ELj32ELj2EiiDF16_DF16_ffEEv20rocsparse_direction_T3_S2_llNS_24const_host_device_scalarIT7_EEPKT2_PKS2_PKT4_PKT5_llS5_PT6_ll16rocsparse_order_21rocsparse_index_base_b, .Lfunc_end71-_ZN9rocsparseL29bsrmmnt_small_blockdim_kernelILj64ELj32ELj2EiiDF16_DF16_ffEEv20rocsparse_direction_T3_S2_llNS_24const_host_device_scalarIT7_EEPKT2_PKS2_PKT4_PKT5_llS5_PT6_ll16rocsparse_order_21rocsparse_index_base_b
                                        ; -- End function
	.section	.AMDGPU.csdata,"",@progbits
; Kernel info:
; codeLenInByte = 1436
; NumSgprs: 36
; NumVgprs: 37
; NumAgprs: 0
; TotalNumVgprs: 37
; ScratchSize: 0
; MemoryBound: 0
; FloatMode: 240
; IeeeMode: 1
; LDSByteSize: 640 bytes/workgroup (compile time only)
; SGPRBlocks: 4
; VGPRBlocks: 4
; NumSGPRsForWavesPerEU: 36
; NumVGPRsForWavesPerEU: 37
; AccumOffset: 40
; Occupancy: 8
; WaveLimiterHint : 0
; COMPUTE_PGM_RSRC2:SCRATCH_EN: 0
; COMPUTE_PGM_RSRC2:USER_SGPR: 6
; COMPUTE_PGM_RSRC2:TRAP_HANDLER: 0
; COMPUTE_PGM_RSRC2:TGID_X_EN: 1
; COMPUTE_PGM_RSRC2:TGID_Y_EN: 0
; COMPUTE_PGM_RSRC2:TGID_Z_EN: 0
; COMPUTE_PGM_RSRC2:TIDIG_COMP_CNT: 0
; COMPUTE_PGM_RSRC3_GFX90A:ACCUM_OFFSET: 9
; COMPUTE_PGM_RSRC3_GFX90A:TG_SPLIT: 0
	.section	.text._ZN9rocsparseL29bsrmmnt_small_blockdim_kernelILj64ELj64ELj2EiiDF16_DF16_ffEEv20rocsparse_direction_T3_S2_llNS_24const_host_device_scalarIT7_EEPKT2_PKS2_PKT4_PKT5_llS5_PT6_ll16rocsparse_order_21rocsparse_index_base_b,"axG",@progbits,_ZN9rocsparseL29bsrmmnt_small_blockdim_kernelILj64ELj64ELj2EiiDF16_DF16_ffEEv20rocsparse_direction_T3_S2_llNS_24const_host_device_scalarIT7_EEPKT2_PKS2_PKT4_PKT5_llS5_PT6_ll16rocsparse_order_21rocsparse_index_base_b,comdat
	.globl	_ZN9rocsparseL29bsrmmnt_small_blockdim_kernelILj64ELj64ELj2EiiDF16_DF16_ffEEv20rocsparse_direction_T3_S2_llNS_24const_host_device_scalarIT7_EEPKT2_PKS2_PKT4_PKT5_llS5_PT6_ll16rocsparse_order_21rocsparse_index_base_b ; -- Begin function _ZN9rocsparseL29bsrmmnt_small_blockdim_kernelILj64ELj64ELj2EiiDF16_DF16_ffEEv20rocsparse_direction_T3_S2_llNS_24const_host_device_scalarIT7_EEPKT2_PKS2_PKT4_PKT5_llS5_PT6_ll16rocsparse_order_21rocsparse_index_base_b
	.p2align	8
	.type	_ZN9rocsparseL29bsrmmnt_small_blockdim_kernelILj64ELj64ELj2EiiDF16_DF16_ffEEv20rocsparse_direction_T3_S2_llNS_24const_host_device_scalarIT7_EEPKT2_PKS2_PKT4_PKT5_llS5_PT6_ll16rocsparse_order_21rocsparse_index_base_b,@function
_ZN9rocsparseL29bsrmmnt_small_blockdim_kernelILj64ELj64ELj2EiiDF16_DF16_ffEEv20rocsparse_direction_T3_S2_llNS_24const_host_device_scalarIT7_EEPKT2_PKS2_PKT4_PKT5_llS5_PT6_ll16rocsparse_order_21rocsparse_index_base_b: ; @_ZN9rocsparseL29bsrmmnt_small_blockdim_kernelILj64ELj64ELj2EiiDF16_DF16_ffEEv20rocsparse_direction_T3_S2_llNS_24const_host_device_scalarIT7_EEPKT2_PKS2_PKT4_PKT5_llS5_PT6_ll16rocsparse_order_21rocsparse_index_base_b
; %bb.0:
	s_load_dwordx4 s[16:19], s[4:5], 0x78
	s_load_dwordx2 s[28:29], s[4:5], 0x20
	s_load_dwordx2 s[30:31], s[4:5], 0x58
	s_waitcnt lgkmcnt(0)
	s_bitcmp1_b32 s18, 0
	s_cselect_b64 s[2:3], -1, 0
	s_xor_b64 s[0:1], s[2:3], -1
	s_and_b64 vcc, exec, s[2:3]
	s_cbranch_vccnz .LBB72_2
; %bb.1:
	s_load_dword s28, s[28:29], 0x0
.LBB72_2:
	s_andn2_b64 vcc, exec, s[0:1]
	s_cbranch_vccnz .LBB72_4
; %bb.3:
	s_load_dword s30, s[30:31], 0x0
.LBB72_4:
	s_waitcnt lgkmcnt(0)
	v_cmp_eq_f32_e64 s[0:1], s28, 0
	v_cmp_eq_f32_e64 s[2:3], s30, 1.0
	s_and_b64 s[0:1], s[0:1], s[2:3]
	s_and_b64 vcc, exec, s[0:1]
	s_cbranch_vccnz .LBB72_30
; %bb.5:
	s_load_dword s0, s[4:5], 0x94
	s_load_dwordx4 s[20:23], s[4:5], 0x0
	s_waitcnt lgkmcnt(0)
	s_and_b32 s0, s0, 0xffff
	s_mul_i32 s6, s6, s0
	v_add_u32_e32 v1, s6, v0
	v_lshrrev_b32_e32 v2, 7, v1
	v_cmp_gt_i32_e32 vcc, s21, v2
	s_and_saveexec_b64 s[0:1], vcc
	s_cbranch_execz .LBB72_30
; %bb.6:
	s_cmp_lt_i32 s22, 1
	s_cbranch_scc1 .LBB72_30
; %bb.7:
	s_load_dwordx8 s[8:15], s[4:5], 0x28
	v_lshlrev_b32_e32 v2, 2, v2
	s_cmp_lg_u32 s16, 1
	v_mul_u32_u24_e32 v6, 3, v0
	v_lshrrev_b32_e32 v13, 6, v1
	s_waitcnt lgkmcnt(0)
	global_load_dwordx2 v[4:5], v2, s[8:9]
	s_load_dwordx4 s[24:27], s[4:5], 0x60
	s_load_dwordx2 s[6:7], s[4:5], 0x48
	s_cselect_b64 s[8:9], -1, 0
	s_cmp_eq_u32 s20, 0
	s_cselect_b64 s[0:1], -1, 0
	v_bfe_u32 v2, v1, 6, 1
	v_lshlrev_b32_e32 v9, 1, v6
	v_cndmask_b32_e64 v6, 0, 1, s[0:1]
	s_and_b64 s[0:1], s[0:1], exec
	v_lshlrev_b32_e32 v10, v6, v2
	s_waitcnt lgkmcnt(0)
	v_mad_u64_u32 v[6:7], s[0:1], v13, s26, 0
	v_mov_b32_e32 v3, 0
	v_mov_b32_e32 v2, v7
	v_lshlrev_b32_e32 v11, 2, v13
	v_mad_u64_u32 v[14:15], s[0:1], v13, s27, v[2:3]
	v_mov_b32_e32 v16, s25
	v_add_co_u32_e32 v11, vcc, s24, v11
	v_mov_b32_e32 v7, v14
	v_addc_co_u32_e32 v12, vcc, 0, v16, vcc
	v_lshlrev_b64 v[6:7], 2, v[6:7]
	v_mov_b32_e32 v1, 0x180
	v_add_co_u32_e32 v13, vcc, s24, v6
	s_mov_b32 s16, 0
	v_cmp_neq_f32_e64 s[4:5], s30, 0
	v_lshl_add_u32 v8, v0, 2, v1
	s_cselect_b32 s23, 1, 2
	v_addc_co_u32_e32 v14, vcc, v16, v7, vcc
	s_mov_b32 s29, 0x5040100
	s_waitcnt vmcnt(0)
	v_subrev_u32_e32 v15, s17, v4
	v_subrev_u32_e32 v16, s17, v5
	v_cmp_lt_i32_e64 s[0:1], v4, v5
	s_branch .LBB72_9
.LBB72_8:                               ;   in Loop: Header=BB72_9 Depth=1
	s_or_b64 exec, exec, s[2:3]
	s_add_i32 s16, s16, 64
	s_cmp_lt_i32 s16, s22
	s_cbranch_scc0 .LBB72_30
.LBB72_9:                               ; =>This Loop Header: Depth=1
                                        ;     Child Loop BB72_12 Depth 2
                                        ;       Child Loop BB72_16 Depth 3
	v_or_b32_e32 v4, s16, v0
	v_ashrrev_i32_e32 v5, 31, v4
	v_mov_b32_e32 v17, v3
	s_and_saveexec_b64 s[18:19], s[0:1]
	s_cbranch_execz .LBB72_18
; %bb.10:                               ;   in Loop: Header=BB72_9 Depth=1
	v_lshlrev_b64 v[6:7], 1, v[4:5]
	v_mov_b32_e32 v2, s15
	v_add_co_u32_e64 v18, s[2:3], s14, v6
	v_cmp_gt_i32_e32 vcc, s22, v4
	v_addc_co_u32_e64 v19, s[2:3], v2, v7, s[2:3]
	s_mov_b64 s[20:21], 0
	v_mov_b32_e32 v17, 0
	v_mov_b32_e32 v20, v15
	s_branch .LBB72_12
.LBB72_11:                              ;   in Loop: Header=BB72_12 Depth=2
	s_or_b64 exec, exec, s[24:25]
	v_add_u32_e32 v20, 64, v20
	v_cmp_ge_i32_e64 s[2:3], v20, v16
	s_or_b64 s[20:21], s[2:3], s[20:21]
	s_andn2_b64 exec, exec, s[20:21]
	s_cbranch_execz .LBB72_17
.LBB72_12:                              ;   Parent Loop BB72_9 Depth=1
                                        ; =>  This Loop Header: Depth=2
                                        ;       Child Loop BB72_16 Depth 3
	v_add_u32_e32 v6, v20, v0
	v_cmp_lt_i32_e64 s[2:3], v6, v16
	v_mov_b32_e32 v2, 0
	v_mov_b32_e32 v7, 0
	s_and_saveexec_b64 s[24:25], s[2:3]
	s_cbranch_execz .LBB72_14
; %bb.13:                               ;   in Loop: Header=BB72_12 Depth=2
	v_ashrrev_i32_e32 v7, 31, v6
	v_lshlrev_b64 v[22:23], 2, v[6:7]
	v_mov_b32_e32 v2, s11
	v_add_co_u32_e64 v22, s[2:3], s10, v22
	v_addc_co_u32_e64 v23, s[2:3], v2, v23, s[2:3]
	v_lshl_or_b32 v2, v6, 2, v10
	v_lshlrev_b64 v[6:7], 1, v[2:3]
	v_mov_b32_e32 v24, s13
	v_add_co_u32_e64 v6, s[2:3], s12, v6
	v_or_b32_e32 v2, s23, v2
	global_load_dword v21, v[22:23], off
	v_addc_co_u32_e64 v7, s[2:3], v24, v7, s[2:3]
	v_lshlrev_b64 v[22:23], 1, v[2:3]
	v_add_co_u32_e64 v22, s[2:3], s12, v22
	v_addc_co_u32_e64 v23, s[2:3], v24, v23, s[2:3]
	global_load_ushort v24, v[6:7], off
	global_load_ushort v25, v[22:23], off
	s_waitcnt vmcnt(2)
	v_subrev_u32_e32 v2, s17, v21
	v_lshlrev_b32_e32 v2, 1, v2
	s_waitcnt vmcnt(0)
	v_perm_b32 v7, v25, v24, s29
.LBB72_14:                              ;   in Loop: Header=BB72_12 Depth=2
	s_or_b64 exec, exec, s[24:25]
	ds_write_b32 v8, v2
	ds_write_b32 v9, v7
	s_waitcnt lgkmcnt(0)
	; wave barrier
	s_waitcnt lgkmcnt(0)
	s_and_saveexec_b64 s[24:25], vcc
	s_cbranch_execz .LBB72_11
; %bb.15:                               ;   in Loop: Header=BB72_12 Depth=2
	s_mov_b32 s31, 0
	v_mov_b32_e32 v2, 0
.LBB72_16:                              ;   Parent Loop BB72_9 Depth=1
                                        ;     Parent Loop BB72_12 Depth=2
                                        ; =>    This Inner Loop Header: Depth=3
	v_add_u32_e32 v6, s31, v1
	ds_read_b64 v[6:7], v6
	s_add_i32 s31, s31, 8
	s_cmpk_lg_i32 s31, 0x100
	s_waitcnt lgkmcnt(0)
	v_ashrrev_i32_e32 v21, 31, v6
	v_mul_lo_u32 v28, v6, s7
	v_mad_u64_u32 v[22:23], s[2:3], v6, s6, 0
	v_mul_lo_u32 v21, v21, s6
	v_add_u32_e32 v6, 1, v6
	v_ashrrev_i32_e32 v26, 31, v7
	v_add_u32_e32 v27, 1, v7
	v_add3_u32 v23, v23, v28, v21
	v_mul_lo_u32 v29, v7, s7
	v_mad_u64_u32 v[24:25], s[2:3], v7, s6, 0
	v_ashrrev_i32_e32 v30, 31, v6
	v_mul_lo_u32 v31, v6, s7
	v_mad_u64_u32 v[6:7], s[2:3], v6, s6, 0
	v_mul_lo_u32 v32, v26, s6
	v_ashrrev_i32_e32 v33, 31, v27
	v_mul_lo_u32 v34, v27, s7
	v_mad_u64_u32 v[26:27], s[2:3], v27, s6, 0
	v_lshlrev_b64 v[22:23], 1, v[22:23]
	v_add3_u32 v25, v25, v29, v32
	v_add_co_u32_e64 v22, s[2:3], v18, v22
	v_mul_lo_u32 v21, v30, s6
	v_lshlrev_b64 v[24:25], 1, v[24:25]
	v_addc_co_u32_e64 v23, s[2:3], v19, v23, s[2:3]
	v_add3_u32 v7, v7, v31, v21
	v_add_co_u32_e64 v24, s[2:3], v18, v24
	v_mul_lo_u32 v28, v33, s6
	v_lshlrev_b64 v[6:7], 1, v[6:7]
	v_addc_co_u32_e64 v25, s[2:3], v19, v25, s[2:3]
	v_add3_u32 v27, v27, v34, v28
	v_add_co_u32_e64 v6, s[2:3], v18, v6
	v_lshlrev_b64 v[26:27], 1, v[26:27]
	v_addc_co_u32_e64 v7, s[2:3], v19, v7, s[2:3]
	v_add_co_u32_e64 v26, s[2:3], v18, v26
	v_addc_co_u32_e64 v27, s[2:3], v19, v27, s[2:3]
	global_load_ushort v21, v[22:23], off
	global_load_ushort v28, v[6:7], off
	;; [unrolled: 1-line block ×4, first 2 shown]
	ds_read_b32 v6, v2
	ds_read_u16 v7, v2 offset:6
	ds_read_u16 v22, v2 offset:8
	v_add_u32_e32 v2, 12, v2
	s_waitcnt vmcnt(3) lgkmcnt(2)
	v_fma_mix_f32 v17, v6, v21, v17 op_sel_hi:[1,1,0]
	s_waitcnt vmcnt(2)
	v_fma_mix_f32 v6, v6, v28, v17 op_sel:[1,0,0] op_sel_hi:[1,1,0]
	s_waitcnt vmcnt(1) lgkmcnt(1)
	v_fma_mix_f32 v6, v7, v29, v6 op_sel_hi:[1,1,0]
	s_waitcnt vmcnt(0) lgkmcnt(0)
	v_fma_mix_f32 v17, v22, v30, v6 op_sel_hi:[1,1,0]
	s_cbranch_scc1 .LBB72_16
	s_branch .LBB72_11
.LBB72_17:                              ;   in Loop: Header=BB72_9 Depth=1
	s_or_b64 exec, exec, s[20:21]
.LBB72_18:                              ;   in Loop: Header=BB72_9 Depth=1
	s_or_b64 exec, exec, s[18:19]
	v_cmp_gt_i32_e32 vcc, s22, v4
	s_and_saveexec_b64 s[2:3], vcc
	s_cbranch_execz .LBB72_8
; %bb.19:                               ;   in Loop: Header=BB72_9 Depth=1
	s_mov_b64 s[18:19], -1
	s_and_b64 vcc, exec, s[4:5]
	s_cbranch_vccz .LBB72_25
; %bb.20:                               ;   in Loop: Header=BB72_9 Depth=1
	s_and_b64 vcc, exec, s[8:9]
	s_cbranch_vccz .LBB72_22
; %bb.21:                               ;   in Loop: Header=BB72_9 Depth=1
	v_lshlrev_b64 v[6:7], 2, v[4:5]
	v_add_co_u32_e32 v6, vcc, v13, v6
	v_addc_co_u32_e32 v7, vcc, v14, v7, vcc
	global_load_dword v2, v[6:7], off
	v_mul_f32_e32 v18, s28, v17
	s_mov_b64 s[18:19], 0
	s_waitcnt vmcnt(0)
	v_fmac_f32_e32 v18, s30, v2
	global_store_dword v[6:7], v18, off
.LBB72_22:                              ;   in Loop: Header=BB72_9 Depth=1
	s_andn2_b64 vcc, exec, s[18:19]
	s_cbranch_vccnz .LBB72_24
; %bb.23:                               ;   in Loop: Header=BB72_9 Depth=1
	v_mul_lo_u32 v2, v5, s26
	v_mul_lo_u32 v18, v4, s27
	v_mad_u64_u32 v[6:7], s[18:19], v4, s26, 0
	v_add3_u32 v7, v7, v18, v2
	v_lshlrev_b64 v[6:7], 2, v[6:7]
	v_add_co_u32_e32 v6, vcc, v11, v6
	v_addc_co_u32_e32 v7, vcc, v12, v7, vcc
	global_load_dword v2, v[6:7], off
	v_mul_f32_e32 v18, s28, v17
	s_waitcnt vmcnt(0)
	v_fmac_f32_e32 v18, s30, v2
	global_store_dword v[6:7], v18, off
.LBB72_24:                              ;   in Loop: Header=BB72_9 Depth=1
	s_mov_b64 s[18:19], 0
.LBB72_25:                              ;   in Loop: Header=BB72_9 Depth=1
	s_andn2_b64 vcc, exec, s[18:19]
	s_cbranch_vccnz .LBB72_8
; %bb.26:                               ;   in Loop: Header=BB72_9 Depth=1
	v_mul_f32_e32 v2, s28, v17
	s_mov_b64 s[18:19], -1
	s_and_b64 vcc, exec, s[8:9]
	s_cbranch_vccz .LBB72_28
; %bb.27:                               ;   in Loop: Header=BB72_9 Depth=1
	v_lshlrev_b64 v[6:7], 2, v[4:5]
	v_add_co_u32_e32 v6, vcc, v13, v6
	v_addc_co_u32_e32 v7, vcc, v14, v7, vcc
	global_store_dword v[6:7], v2, off
	s_mov_b64 s[18:19], 0
.LBB72_28:                              ;   in Loop: Header=BB72_9 Depth=1
	s_andn2_b64 vcc, exec, s[18:19]
	s_cbranch_vccnz .LBB72_8
; %bb.29:                               ;   in Loop: Header=BB72_9 Depth=1
	v_mul_lo_u32 v6, v5, s26
	v_mul_lo_u32 v7, v4, s27
	v_mad_u64_u32 v[4:5], s[18:19], v4, s26, 0
	v_add3_u32 v5, v5, v7, v6
	v_lshlrev_b64 v[4:5], 2, v[4:5]
	v_add_co_u32_e32 v4, vcc, v11, v4
	v_addc_co_u32_e32 v5, vcc, v12, v5, vcc
	global_store_dword v[4:5], v2, off
	s_branch .LBB72_8
.LBB72_30:
	s_endpgm
	.section	.rodata,"a",@progbits
	.p2align	6, 0x0
	.amdhsa_kernel _ZN9rocsparseL29bsrmmnt_small_blockdim_kernelILj64ELj64ELj2EiiDF16_DF16_ffEEv20rocsparse_direction_T3_S2_llNS_24const_host_device_scalarIT7_EEPKT2_PKS2_PKT4_PKT5_llS5_PT6_ll16rocsparse_order_21rocsparse_index_base_b
		.amdhsa_group_segment_fixed_size 640
		.amdhsa_private_segment_fixed_size 0
		.amdhsa_kernarg_size 392
		.amdhsa_user_sgpr_count 6
		.amdhsa_user_sgpr_private_segment_buffer 1
		.amdhsa_user_sgpr_dispatch_ptr 0
		.amdhsa_user_sgpr_queue_ptr 0
		.amdhsa_user_sgpr_kernarg_segment_ptr 1
		.amdhsa_user_sgpr_dispatch_id 0
		.amdhsa_user_sgpr_flat_scratch_init 0
		.amdhsa_user_sgpr_kernarg_preload_length 0
		.amdhsa_user_sgpr_kernarg_preload_offset 0
		.amdhsa_user_sgpr_private_segment_size 0
		.amdhsa_uses_dynamic_stack 0
		.amdhsa_system_sgpr_private_segment_wavefront_offset 0
		.amdhsa_system_sgpr_workgroup_id_x 1
		.amdhsa_system_sgpr_workgroup_id_y 0
		.amdhsa_system_sgpr_workgroup_id_z 0
		.amdhsa_system_sgpr_workgroup_info 0
		.amdhsa_system_vgpr_workitem_id 0
		.amdhsa_next_free_vgpr 35
		.amdhsa_next_free_sgpr 32
		.amdhsa_accum_offset 36
		.amdhsa_reserve_vcc 1
		.amdhsa_reserve_flat_scratch 0
		.amdhsa_float_round_mode_32 0
		.amdhsa_float_round_mode_16_64 0
		.amdhsa_float_denorm_mode_32 3
		.amdhsa_float_denorm_mode_16_64 3
		.amdhsa_dx10_clamp 1
		.amdhsa_ieee_mode 1
		.amdhsa_fp16_overflow 0
		.amdhsa_tg_split 0
		.amdhsa_exception_fp_ieee_invalid_op 0
		.amdhsa_exception_fp_denorm_src 0
		.amdhsa_exception_fp_ieee_div_zero 0
		.amdhsa_exception_fp_ieee_overflow 0
		.amdhsa_exception_fp_ieee_underflow 0
		.amdhsa_exception_fp_ieee_inexact 0
		.amdhsa_exception_int_div_zero 0
	.end_amdhsa_kernel
	.section	.text._ZN9rocsparseL29bsrmmnt_small_blockdim_kernelILj64ELj64ELj2EiiDF16_DF16_ffEEv20rocsparse_direction_T3_S2_llNS_24const_host_device_scalarIT7_EEPKT2_PKS2_PKT4_PKT5_llS5_PT6_ll16rocsparse_order_21rocsparse_index_base_b,"axG",@progbits,_ZN9rocsparseL29bsrmmnt_small_blockdim_kernelILj64ELj64ELj2EiiDF16_DF16_ffEEv20rocsparse_direction_T3_S2_llNS_24const_host_device_scalarIT7_EEPKT2_PKS2_PKT4_PKT5_llS5_PT6_ll16rocsparse_order_21rocsparse_index_base_b,comdat
.Lfunc_end72:
	.size	_ZN9rocsparseL29bsrmmnt_small_blockdim_kernelILj64ELj64ELj2EiiDF16_DF16_ffEEv20rocsparse_direction_T3_S2_llNS_24const_host_device_scalarIT7_EEPKT2_PKS2_PKT4_PKT5_llS5_PT6_ll16rocsparse_order_21rocsparse_index_base_b, .Lfunc_end72-_ZN9rocsparseL29bsrmmnt_small_blockdim_kernelILj64ELj64ELj2EiiDF16_DF16_ffEEv20rocsparse_direction_T3_S2_llNS_24const_host_device_scalarIT7_EEPKT2_PKS2_PKT4_PKT5_llS5_PT6_ll16rocsparse_order_21rocsparse_index_base_b
                                        ; -- End function
	.section	.AMDGPU.csdata,"",@progbits
; Kernel info:
; codeLenInByte = 1400
; NumSgprs: 36
; NumVgprs: 35
; NumAgprs: 0
; TotalNumVgprs: 35
; ScratchSize: 0
; MemoryBound: 0
; FloatMode: 240
; IeeeMode: 1
; LDSByteSize: 640 bytes/workgroup (compile time only)
; SGPRBlocks: 4
; VGPRBlocks: 4
; NumSGPRsForWavesPerEU: 36
; NumVGPRsForWavesPerEU: 35
; AccumOffset: 36
; Occupancy: 8
; WaveLimiterHint : 0
; COMPUTE_PGM_RSRC2:SCRATCH_EN: 0
; COMPUTE_PGM_RSRC2:USER_SGPR: 6
; COMPUTE_PGM_RSRC2:TRAP_HANDLER: 0
; COMPUTE_PGM_RSRC2:TGID_X_EN: 1
; COMPUTE_PGM_RSRC2:TGID_Y_EN: 0
; COMPUTE_PGM_RSRC2:TGID_Z_EN: 0
; COMPUTE_PGM_RSRC2:TIDIG_COMP_CNT: 0
; COMPUTE_PGM_RSRC3_GFX90A:ACCUM_OFFSET: 8
; COMPUTE_PGM_RSRC3_GFX90A:TG_SPLIT: 0
	.section	.text._ZN9rocsparseL29bsrmmnt_small_blockdim_kernelILj64ELj8ELj2EliDF16_DF16_ffEEv20rocsparse_direction_T3_S2_llNS_24const_host_device_scalarIT7_EEPKT2_PKS2_PKT4_PKT5_llS5_PT6_ll16rocsparse_order_21rocsparse_index_base_b,"axG",@progbits,_ZN9rocsparseL29bsrmmnt_small_blockdim_kernelILj64ELj8ELj2EliDF16_DF16_ffEEv20rocsparse_direction_T3_S2_llNS_24const_host_device_scalarIT7_EEPKT2_PKS2_PKT4_PKT5_llS5_PT6_ll16rocsparse_order_21rocsparse_index_base_b,comdat
	.globl	_ZN9rocsparseL29bsrmmnt_small_blockdim_kernelILj64ELj8ELj2EliDF16_DF16_ffEEv20rocsparse_direction_T3_S2_llNS_24const_host_device_scalarIT7_EEPKT2_PKS2_PKT4_PKT5_llS5_PT6_ll16rocsparse_order_21rocsparse_index_base_b ; -- Begin function _ZN9rocsparseL29bsrmmnt_small_blockdim_kernelILj64ELj8ELj2EliDF16_DF16_ffEEv20rocsparse_direction_T3_S2_llNS_24const_host_device_scalarIT7_EEPKT2_PKS2_PKT4_PKT5_llS5_PT6_ll16rocsparse_order_21rocsparse_index_base_b
	.p2align	8
	.type	_ZN9rocsparseL29bsrmmnt_small_blockdim_kernelILj64ELj8ELj2EliDF16_DF16_ffEEv20rocsparse_direction_T3_S2_llNS_24const_host_device_scalarIT7_EEPKT2_PKS2_PKT4_PKT5_llS5_PT6_ll16rocsparse_order_21rocsparse_index_base_b,@function
_ZN9rocsparseL29bsrmmnt_small_blockdim_kernelILj64ELj8ELj2EliDF16_DF16_ffEEv20rocsparse_direction_T3_S2_llNS_24const_host_device_scalarIT7_EEPKT2_PKS2_PKT4_PKT5_llS5_PT6_ll16rocsparse_order_21rocsparse_index_base_b: ; @_ZN9rocsparseL29bsrmmnt_small_blockdim_kernelILj64ELj8ELj2EliDF16_DF16_ffEEv20rocsparse_direction_T3_S2_llNS_24const_host_device_scalarIT7_EEPKT2_PKS2_PKT4_PKT5_llS5_PT6_ll16rocsparse_order_21rocsparse_index_base_b
; %bb.0:
	s_load_dwordx4 s[16:19], s[4:5], 0x78
	s_load_dwordx2 s[28:29], s[4:5], 0x20
	s_load_dwordx2 s[30:31], s[4:5], 0x58
	s_waitcnt lgkmcnt(0)
	s_bitcmp1_b32 s18, 0
	s_cselect_b64 s[2:3], -1, 0
	s_xor_b64 s[0:1], s[2:3], -1
	s_and_b64 vcc, exec, s[2:3]
	s_cbranch_vccnz .LBB73_2
; %bb.1:
	s_load_dword s28, s[28:29], 0x0
.LBB73_2:
	s_andn2_b64 vcc, exec, s[0:1]
	s_cbranch_vccnz .LBB73_4
; %bb.3:
	s_load_dword s30, s[30:31], 0x0
.LBB73_4:
	s_waitcnt lgkmcnt(0)
	v_cmp_eq_f32_e64 s[0:1], s28, 0
	v_cmp_eq_f32_e64 s[2:3], s30, 1.0
	s_and_b64 s[0:1], s[0:1], s[2:3]
	s_and_b64 vcc, exec, s[0:1]
	s_cbranch_vccnz .LBB73_30
; %bb.5:
	s_load_dword s0, s[4:5], 0x94
	s_load_dwordx4 s[20:23], s[4:5], 0x0
	s_waitcnt lgkmcnt(0)
	s_and_b32 s0, s0, 0xffff
	s_mul_i32 s6, s6, s0
	v_add_u32_e32 v1, s6, v0
	v_lshrrev_b32_e32 v2, 4, v1
	v_cmp_gt_i32_e32 vcc, s21, v2
	s_and_saveexec_b64 s[0:1], vcc
	s_cbranch_execz .LBB73_30
; %bb.6:
	s_cmp_lt_i32 s22, 1
	s_cbranch_scc1 .LBB73_30
; %bb.7:
	s_load_dwordx8 s[8:15], s[4:5], 0x28
	v_lshlrev_b32_e32 v2, 3, v2
	s_cmp_lg_u32 s16, 1
	v_lshrrev_b32_e32 v7, 3, v1
	v_bfe_u32 v4, v1, 3, 1
	s_waitcnt lgkmcnt(0)
	global_load_dwordx4 v[8:11], v2, s[8:9]
	s_load_dwordx4 s[24:27], s[4:5], 0x60
	s_load_dwordx2 s[6:7], s[4:5], 0x48
	v_and_b32_e32 v2, 7, v0
	s_cselect_b64 s[8:9], -1, 0
	s_cmp_eq_u32 s20, 0
	v_mul_u32_u24_e32 v5, 3, v2
	s_cselect_b64 s[0:1], -1, 0
	v_lshrrev_b32_e32 v0, 3, v0
	v_mov_b32_e32 v1, 0x180
	v_lshlrev_b32_e32 v5, 1, v5
	v_cndmask_b32_e64 v6, 0, 1, s[0:1]
	v_lshl_add_u32 v1, v0, 5, v1
	v_mul_u32_u24_e32 v3, 48, v0
	v_mad_u32_u24 v15, v0, 48, v5
	s_and_b64 s[0:1], s[0:1], exec
	v_lshlrev_b32_e32 v0, v6, v4
	s_waitcnt lgkmcnt(0)
	v_mad_u64_u32 v[4:5], s[0:1], v7, s26, 0
	v_mov_b32_e32 v6, v5
	v_lshlrev_b32_e32 v12, 2, v7
	v_mad_u64_u32 v[6:7], s[0:1], v7, s27, v[6:7]
	v_mov_b32_e32 v13, s25
	v_add_co_u32_e32 v16, vcc, s24, v12
	v_mov_b32_e32 v5, v6
	v_addc_co_u32_e32 v17, vcc, 0, v13, vcc
	v_lshlrev_b64 v[4:5], 2, v[4:5]
	v_add_co_u32_e32 v18, vcc, s24, v4
	v_addc_co_u32_e32 v19, vcc, v13, v5, vcc
	s_mov_b32 s23, 0
	v_cmp_neq_f32_e64 s[4:5], s30, 0
	v_lshl_or_b32 v14, v2, 2, v1
	s_cselect_b32 s16, 1, 2
	s_mov_b32 s29, 0x5040100
	s_waitcnt vmcnt(0)
	v_subrev_co_u32_e32 v4, vcc, s17, v8
	v_subbrev_co_u32_e32 v5, vcc, 0, v9, vcc
	v_subrev_co_u32_e32 v6, vcc, s17, v10
	v_subbrev_co_u32_e32 v7, vcc, 0, v11, vcc
	v_cmp_lt_i64_e64 s[0:1], v[8:9], v[10:11]
	s_branch .LBB73_9
.LBB73_8:                               ;   in Loop: Header=BB73_9 Depth=1
	s_or_b64 exec, exec, s[2:3]
	s_add_i32 s23, s23, 8
	s_cmp_lt_i32 s23, s22
	s_cbranch_scc0 .LBB73_30
.LBB73_9:                               ; =>This Loop Header: Depth=1
                                        ;     Child Loop BB73_12 Depth 2
                                        ;       Child Loop BB73_16 Depth 3
	v_or_b32_e32 v8, s23, v2
	v_ashrrev_i32_e32 v9, 31, v8
	v_mov_b32_e32 v20, 0
	s_and_saveexec_b64 s[18:19], s[0:1]
	s_cbranch_execz .LBB73_18
; %bb.10:                               ;   in Loop: Header=BB73_9 Depth=1
	v_lshlrev_b64 v[10:11], 1, v[8:9]
	v_mov_b32_e32 v12, s15
	v_add_co_u32_e64 v21, s[2:3], s14, v10
	v_cmp_gt_i32_e32 vcc, s22, v8
	v_addc_co_u32_e64 v22, s[2:3], v12, v11, s[2:3]
	s_mov_b64 s[20:21], 0
	v_mov_b32_e32 v20, 0
	v_pk_mov_b32 v[10:11], v[4:5], v[4:5] op_sel:[0,1]
	s_branch .LBB73_12
.LBB73_11:                              ;   in Loop: Header=BB73_12 Depth=2
	s_or_b64 exec, exec, s[24:25]
	v_add_co_u32_e64 v10, s[2:3], 8, v10
	v_addc_co_u32_e64 v11, s[2:3], 0, v11, s[2:3]
	v_cmp_ge_i64_e64 s[2:3], v[10:11], v[6:7]
	s_or_b64 s[20:21], s[2:3], s[20:21]
	s_andn2_b64 exec, exec, s[20:21]
	s_cbranch_execz .LBB73_17
.LBB73_12:                              ;   Parent Loop BB73_9 Depth=1
                                        ; =>  This Loop Header: Depth=2
                                        ;       Child Loop BB73_16 Depth 3
	v_add_co_u32_e64 v12, s[2:3], v10, v2
	v_addc_co_u32_e64 v13, s[2:3], 0, v11, s[2:3]
	v_cmp_lt_i64_e64 s[2:3], v[12:13], v[6:7]
	v_mov_b32_e32 v23, 0
	v_mov_b32_e32 v24, 0
	s_and_saveexec_b64 s[24:25], s[2:3]
	s_cbranch_execz .LBB73_14
; %bb.13:                               ;   in Loop: Header=BB73_12 Depth=2
	v_lshlrev_b64 v[12:13], 2, v[12:13]
	v_mov_b32_e32 v23, s11
	v_add_co_u32_e64 v24, s[2:3], s10, v12
	v_addc_co_u32_e64 v25, s[2:3], v23, v13, s[2:3]
	v_or_b32_e32 v13, 0, v13
	v_or_b32_e32 v12, v12, v0
	global_load_dword v23, v[24:25], off
	v_lshlrev_b64 v[24:25], 1, v[12:13]
	v_mov_b32_e32 v26, s13
	v_add_co_u32_e64 v24, s[2:3], s12, v24
	v_or_b32_e32 v13, 0, v13
	v_or_b32_e32 v12, s16, v12
	v_addc_co_u32_e64 v25, s[2:3], v26, v25, s[2:3]
	v_lshlrev_b64 v[12:13], 1, v[12:13]
	v_add_co_u32_e64 v12, s[2:3], s12, v12
	v_addc_co_u32_e64 v13, s[2:3], v26, v13, s[2:3]
	global_load_ushort v26, v[24:25], off
	global_load_ushort v27, v[12:13], off
	s_waitcnt vmcnt(2)
	v_subrev_u32_e32 v12, s17, v23
	v_lshlrev_b32_e32 v23, 1, v12
	s_waitcnt vmcnt(0)
	v_perm_b32 v24, v27, v26, s29
.LBB73_14:                              ;   in Loop: Header=BB73_12 Depth=2
	s_or_b64 exec, exec, s[24:25]
	ds_write_b32 v14, v23
	ds_write_b32 v15, v24
	s_waitcnt lgkmcnt(0)
	; wave barrier
	s_waitcnt lgkmcnt(0)
	s_and_saveexec_b64 s[24:25], vcc
	s_cbranch_execz .LBB73_11
; %bb.15:                               ;   in Loop: Header=BB73_12 Depth=2
	s_mov_b32 s31, 0
	v_mov_b32_e32 v12, v3
.LBB73_16:                              ;   Parent Loop BB73_9 Depth=1
                                        ;     Parent Loop BB73_12 Depth=2
                                        ; =>    This Inner Loop Header: Depth=3
	v_add_u32_e32 v13, s31, v1
	ds_read_b64 v[24:25], v13
	s_add_i32 s31, s31, 8
	s_cmp_lg_u32 s31, 32
	s_waitcnt lgkmcnt(0)
	v_ashrrev_i32_e32 v13, 31, v24
	v_mul_lo_u32 v23, v24, s7
	v_mad_u64_u32 v[26:27], s[2:3], v24, s6, 0
	v_mul_lo_u32 v13, v13, s6
	v_add_u32_e32 v24, 1, v24
	v_ashrrev_i32_e32 v30, 31, v25
	v_add_u32_e32 v31, 1, v25
	v_add3_u32 v27, v27, v23, v13
	v_mul_lo_u32 v32, v25, s7
	v_mad_u64_u32 v[28:29], s[2:3], v25, s6, 0
	v_ashrrev_i32_e32 v33, 31, v24
	v_mul_lo_u32 v34, v24, s7
	v_mad_u64_u32 v[24:25], s[2:3], v24, s6, 0
	v_mul_lo_u32 v35, v30, s6
	v_ashrrev_i32_e32 v36, 31, v31
	v_mul_lo_u32 v37, v31, s7
	v_mad_u64_u32 v[30:31], s[2:3], v31, s6, 0
	v_lshlrev_b64 v[26:27], 1, v[26:27]
	v_add3_u32 v29, v29, v32, v35
	v_add_co_u32_e64 v26, s[2:3], v21, v26
	v_mul_lo_u32 v13, v33, s6
	v_lshlrev_b64 v[28:29], 1, v[28:29]
	v_addc_co_u32_e64 v27, s[2:3], v22, v27, s[2:3]
	v_add3_u32 v25, v25, v34, v13
	v_add_co_u32_e64 v28, s[2:3], v21, v28
	v_mul_lo_u32 v23, v36, s6
	v_lshlrev_b64 v[24:25], 1, v[24:25]
	v_addc_co_u32_e64 v29, s[2:3], v22, v29, s[2:3]
	v_add3_u32 v31, v31, v37, v23
	v_add_co_u32_e64 v24, s[2:3], v21, v24
	v_lshlrev_b64 v[30:31], 1, v[30:31]
	v_addc_co_u32_e64 v25, s[2:3], v22, v25, s[2:3]
	v_add_co_u32_e64 v30, s[2:3], v21, v30
	v_addc_co_u32_e64 v31, s[2:3], v22, v31, s[2:3]
	global_load_ushort v13, v[26:27], off
	global_load_ushort v23, v[24:25], off
	;; [unrolled: 1-line block ×4, first 2 shown]
	ds_read_b32 v24, v12
	ds_read_u16 v25, v12 offset:6
	ds_read_u16 v26, v12 offset:8
	v_add_u32_e32 v12, 12, v12
	s_waitcnt vmcnt(3) lgkmcnt(2)
	v_fma_mix_f32 v13, v24, v13, v20 op_sel_hi:[1,1,0]
	s_waitcnt vmcnt(2)
	v_fma_mix_f32 v13, v24, v23, v13 op_sel:[1,0,0] op_sel_hi:[1,1,0]
	s_waitcnt vmcnt(1) lgkmcnt(1)
	v_fma_mix_f32 v13, v25, v32, v13 op_sel_hi:[1,1,0]
	s_waitcnt vmcnt(0) lgkmcnt(0)
	v_fma_mix_f32 v20, v26, v33, v13 op_sel_hi:[1,1,0]
	s_cbranch_scc1 .LBB73_16
	s_branch .LBB73_11
.LBB73_17:                              ;   in Loop: Header=BB73_9 Depth=1
	s_or_b64 exec, exec, s[20:21]
.LBB73_18:                              ;   in Loop: Header=BB73_9 Depth=1
	s_or_b64 exec, exec, s[18:19]
	v_cmp_gt_i32_e32 vcc, s22, v8
	s_and_saveexec_b64 s[2:3], vcc
	s_cbranch_execz .LBB73_8
; %bb.19:                               ;   in Loop: Header=BB73_9 Depth=1
	s_mov_b64 s[18:19], -1
	s_and_b64 vcc, exec, s[4:5]
	s_cbranch_vccz .LBB73_25
; %bb.20:                               ;   in Loop: Header=BB73_9 Depth=1
	s_and_b64 vcc, exec, s[8:9]
	s_cbranch_vccz .LBB73_22
; %bb.21:                               ;   in Loop: Header=BB73_9 Depth=1
	v_lshlrev_b64 v[10:11], 2, v[8:9]
	v_add_co_u32_e32 v10, vcc, v18, v10
	v_addc_co_u32_e32 v11, vcc, v19, v11, vcc
	global_load_dword v12, v[10:11], off
	v_mul_f32_e32 v13, s28, v20
	s_mov_b64 s[18:19], 0
	s_waitcnt vmcnt(0)
	v_fmac_f32_e32 v13, s30, v12
	global_store_dword v[10:11], v13, off
.LBB73_22:                              ;   in Loop: Header=BB73_9 Depth=1
	s_andn2_b64 vcc, exec, s[18:19]
	s_cbranch_vccnz .LBB73_24
; %bb.23:                               ;   in Loop: Header=BB73_9 Depth=1
	v_mul_lo_u32 v12, v9, s26
	v_mul_lo_u32 v13, v8, s27
	v_mad_u64_u32 v[10:11], s[18:19], v8, s26, 0
	v_add3_u32 v11, v11, v13, v12
	v_lshlrev_b64 v[10:11], 2, v[10:11]
	v_add_co_u32_e32 v10, vcc, v16, v10
	v_addc_co_u32_e32 v11, vcc, v17, v11, vcc
	global_load_dword v12, v[10:11], off
	v_mul_f32_e32 v13, s28, v20
	s_waitcnt vmcnt(0)
	v_fmac_f32_e32 v13, s30, v12
	global_store_dword v[10:11], v13, off
.LBB73_24:                              ;   in Loop: Header=BB73_9 Depth=1
	s_mov_b64 s[18:19], 0
.LBB73_25:                              ;   in Loop: Header=BB73_9 Depth=1
	s_andn2_b64 vcc, exec, s[18:19]
	s_cbranch_vccnz .LBB73_8
; %bb.26:                               ;   in Loop: Header=BB73_9 Depth=1
	v_mul_f32_e32 v10, s28, v20
	s_mov_b64 s[18:19], -1
	s_and_b64 vcc, exec, s[8:9]
	s_cbranch_vccz .LBB73_28
; %bb.27:                               ;   in Loop: Header=BB73_9 Depth=1
	v_lshlrev_b64 v[12:13], 2, v[8:9]
	v_add_co_u32_e32 v12, vcc, v18, v12
	v_addc_co_u32_e32 v13, vcc, v19, v13, vcc
	global_store_dword v[12:13], v10, off
	s_mov_b64 s[18:19], 0
.LBB73_28:                              ;   in Loop: Header=BB73_9 Depth=1
	s_andn2_b64 vcc, exec, s[18:19]
	s_cbranch_vccnz .LBB73_8
; %bb.29:                               ;   in Loop: Header=BB73_9 Depth=1
	v_mul_lo_u32 v11, v9, s26
	v_mul_lo_u32 v12, v8, s27
	v_mad_u64_u32 v[8:9], s[18:19], v8, s26, 0
	v_add3_u32 v9, v9, v12, v11
	v_lshlrev_b64 v[8:9], 2, v[8:9]
	v_add_co_u32_e32 v8, vcc, v16, v8
	v_addc_co_u32_e32 v9, vcc, v17, v9, vcc
	global_store_dword v[8:9], v10, off
	s_branch .LBB73_8
.LBB73_30:
	s_endpgm
	.section	.rodata,"a",@progbits
	.p2align	6, 0x0
	.amdhsa_kernel _ZN9rocsparseL29bsrmmnt_small_blockdim_kernelILj64ELj8ELj2EliDF16_DF16_ffEEv20rocsparse_direction_T3_S2_llNS_24const_host_device_scalarIT7_EEPKT2_PKS2_PKT4_PKT5_llS5_PT6_ll16rocsparse_order_21rocsparse_index_base_b
		.amdhsa_group_segment_fixed_size 640
		.amdhsa_private_segment_fixed_size 0
		.amdhsa_kernarg_size 392
		.amdhsa_user_sgpr_count 6
		.amdhsa_user_sgpr_private_segment_buffer 1
		.amdhsa_user_sgpr_dispatch_ptr 0
		.amdhsa_user_sgpr_queue_ptr 0
		.amdhsa_user_sgpr_kernarg_segment_ptr 1
		.amdhsa_user_sgpr_dispatch_id 0
		.amdhsa_user_sgpr_flat_scratch_init 0
		.amdhsa_user_sgpr_kernarg_preload_length 0
		.amdhsa_user_sgpr_kernarg_preload_offset 0
		.amdhsa_user_sgpr_private_segment_size 0
		.amdhsa_uses_dynamic_stack 0
		.amdhsa_system_sgpr_private_segment_wavefront_offset 0
		.amdhsa_system_sgpr_workgroup_id_x 1
		.amdhsa_system_sgpr_workgroup_id_y 0
		.amdhsa_system_sgpr_workgroup_id_z 0
		.amdhsa_system_sgpr_workgroup_info 0
		.amdhsa_system_vgpr_workitem_id 0
		.amdhsa_next_free_vgpr 38
		.amdhsa_next_free_sgpr 32
		.amdhsa_accum_offset 40
		.amdhsa_reserve_vcc 1
		.amdhsa_reserve_flat_scratch 0
		.amdhsa_float_round_mode_32 0
		.amdhsa_float_round_mode_16_64 0
		.amdhsa_float_denorm_mode_32 3
		.amdhsa_float_denorm_mode_16_64 3
		.amdhsa_dx10_clamp 1
		.amdhsa_ieee_mode 1
		.amdhsa_fp16_overflow 0
		.amdhsa_tg_split 0
		.amdhsa_exception_fp_ieee_invalid_op 0
		.amdhsa_exception_fp_denorm_src 0
		.amdhsa_exception_fp_ieee_div_zero 0
		.amdhsa_exception_fp_ieee_overflow 0
		.amdhsa_exception_fp_ieee_underflow 0
		.amdhsa_exception_fp_ieee_inexact 0
		.amdhsa_exception_int_div_zero 0
	.end_amdhsa_kernel
	.section	.text._ZN9rocsparseL29bsrmmnt_small_blockdim_kernelILj64ELj8ELj2EliDF16_DF16_ffEEv20rocsparse_direction_T3_S2_llNS_24const_host_device_scalarIT7_EEPKT2_PKS2_PKT4_PKT5_llS5_PT6_ll16rocsparse_order_21rocsparse_index_base_b,"axG",@progbits,_ZN9rocsparseL29bsrmmnt_small_blockdim_kernelILj64ELj8ELj2EliDF16_DF16_ffEEv20rocsparse_direction_T3_S2_llNS_24const_host_device_scalarIT7_EEPKT2_PKS2_PKT4_PKT5_llS5_PT6_ll16rocsparse_order_21rocsparse_index_base_b,comdat
.Lfunc_end73:
	.size	_ZN9rocsparseL29bsrmmnt_small_blockdim_kernelILj64ELj8ELj2EliDF16_DF16_ffEEv20rocsparse_direction_T3_S2_llNS_24const_host_device_scalarIT7_EEPKT2_PKS2_PKT4_PKT5_llS5_PT6_ll16rocsparse_order_21rocsparse_index_base_b, .Lfunc_end73-_ZN9rocsparseL29bsrmmnt_small_blockdim_kernelILj64ELj8ELj2EliDF16_DF16_ffEEv20rocsparse_direction_T3_S2_llNS_24const_host_device_scalarIT7_EEPKT2_PKS2_PKT4_PKT5_llS5_PT6_ll16rocsparse_order_21rocsparse_index_base_b
                                        ; -- End function
	.section	.AMDGPU.csdata,"",@progbits
; Kernel info:
; codeLenInByte = 1460
; NumSgprs: 36
; NumVgprs: 38
; NumAgprs: 0
; TotalNumVgprs: 38
; ScratchSize: 0
; MemoryBound: 0
; FloatMode: 240
; IeeeMode: 1
; LDSByteSize: 640 bytes/workgroup (compile time only)
; SGPRBlocks: 4
; VGPRBlocks: 4
; NumSGPRsForWavesPerEU: 36
; NumVGPRsForWavesPerEU: 38
; AccumOffset: 40
; Occupancy: 8
; WaveLimiterHint : 0
; COMPUTE_PGM_RSRC2:SCRATCH_EN: 0
; COMPUTE_PGM_RSRC2:USER_SGPR: 6
; COMPUTE_PGM_RSRC2:TRAP_HANDLER: 0
; COMPUTE_PGM_RSRC2:TGID_X_EN: 1
; COMPUTE_PGM_RSRC2:TGID_Y_EN: 0
; COMPUTE_PGM_RSRC2:TGID_Z_EN: 0
; COMPUTE_PGM_RSRC2:TIDIG_COMP_CNT: 0
; COMPUTE_PGM_RSRC3_GFX90A:ACCUM_OFFSET: 9
; COMPUTE_PGM_RSRC3_GFX90A:TG_SPLIT: 0
	.section	.text._ZN9rocsparseL29bsrmmnt_small_blockdim_kernelILj64ELj16ELj2EliDF16_DF16_ffEEv20rocsparse_direction_T3_S2_llNS_24const_host_device_scalarIT7_EEPKT2_PKS2_PKT4_PKT5_llS5_PT6_ll16rocsparse_order_21rocsparse_index_base_b,"axG",@progbits,_ZN9rocsparseL29bsrmmnt_small_blockdim_kernelILj64ELj16ELj2EliDF16_DF16_ffEEv20rocsparse_direction_T3_S2_llNS_24const_host_device_scalarIT7_EEPKT2_PKS2_PKT4_PKT5_llS5_PT6_ll16rocsparse_order_21rocsparse_index_base_b,comdat
	.globl	_ZN9rocsparseL29bsrmmnt_small_blockdim_kernelILj64ELj16ELj2EliDF16_DF16_ffEEv20rocsparse_direction_T3_S2_llNS_24const_host_device_scalarIT7_EEPKT2_PKS2_PKT4_PKT5_llS5_PT6_ll16rocsparse_order_21rocsparse_index_base_b ; -- Begin function _ZN9rocsparseL29bsrmmnt_small_blockdim_kernelILj64ELj16ELj2EliDF16_DF16_ffEEv20rocsparse_direction_T3_S2_llNS_24const_host_device_scalarIT7_EEPKT2_PKS2_PKT4_PKT5_llS5_PT6_ll16rocsparse_order_21rocsparse_index_base_b
	.p2align	8
	.type	_ZN9rocsparseL29bsrmmnt_small_blockdim_kernelILj64ELj16ELj2EliDF16_DF16_ffEEv20rocsparse_direction_T3_S2_llNS_24const_host_device_scalarIT7_EEPKT2_PKS2_PKT4_PKT5_llS5_PT6_ll16rocsparse_order_21rocsparse_index_base_b,@function
_ZN9rocsparseL29bsrmmnt_small_blockdim_kernelILj64ELj16ELj2EliDF16_DF16_ffEEv20rocsparse_direction_T3_S2_llNS_24const_host_device_scalarIT7_EEPKT2_PKS2_PKT4_PKT5_llS5_PT6_ll16rocsparse_order_21rocsparse_index_base_b: ; @_ZN9rocsparseL29bsrmmnt_small_blockdim_kernelILj64ELj16ELj2EliDF16_DF16_ffEEv20rocsparse_direction_T3_S2_llNS_24const_host_device_scalarIT7_EEPKT2_PKS2_PKT4_PKT5_llS5_PT6_ll16rocsparse_order_21rocsparse_index_base_b
; %bb.0:
	s_load_dwordx4 s[16:19], s[4:5], 0x78
	s_load_dwordx2 s[28:29], s[4:5], 0x20
	s_load_dwordx2 s[30:31], s[4:5], 0x58
	s_waitcnt lgkmcnt(0)
	s_bitcmp1_b32 s18, 0
	s_cselect_b64 s[2:3], -1, 0
	s_xor_b64 s[0:1], s[2:3], -1
	s_and_b64 vcc, exec, s[2:3]
	s_cbranch_vccnz .LBB74_2
; %bb.1:
	s_load_dword s28, s[28:29], 0x0
.LBB74_2:
	s_andn2_b64 vcc, exec, s[0:1]
	s_cbranch_vccnz .LBB74_4
; %bb.3:
	s_load_dword s30, s[30:31], 0x0
.LBB74_4:
	s_waitcnt lgkmcnt(0)
	v_cmp_eq_f32_e64 s[0:1], s28, 0
	v_cmp_eq_f32_e64 s[2:3], s30, 1.0
	s_and_b64 s[0:1], s[0:1], s[2:3]
	s_and_b64 vcc, exec, s[0:1]
	s_cbranch_vccnz .LBB74_30
; %bb.5:
	s_load_dword s0, s[4:5], 0x94
	s_load_dwordx4 s[20:23], s[4:5], 0x0
	s_waitcnt lgkmcnt(0)
	s_and_b32 s0, s0, 0xffff
	s_mul_i32 s6, s6, s0
	v_add_u32_e32 v1, s6, v0
	v_lshrrev_b32_e32 v2, 5, v1
	v_cmp_gt_i32_e32 vcc, s21, v2
	s_and_saveexec_b64 s[0:1], vcc
	s_cbranch_execz .LBB74_30
; %bb.6:
	s_cmp_lt_i32 s22, 1
	s_cbranch_scc1 .LBB74_30
; %bb.7:
	s_load_dwordx8 s[8:15], s[4:5], 0x28
	v_lshlrev_b32_e32 v2, 3, v2
	s_cmp_lg_u32 s16, 1
	v_lshrrev_b32_e32 v7, 4, v1
	v_bfe_u32 v4, v1, 4, 1
	s_waitcnt lgkmcnt(0)
	global_load_dwordx4 v[8:11], v2, s[8:9]
	s_load_dwordx4 s[24:27], s[4:5], 0x60
	s_load_dwordx2 s[6:7], s[4:5], 0x48
	v_and_b32_e32 v2, 15, v0
	s_cselect_b64 s[8:9], -1, 0
	s_cmp_eq_u32 s20, 0
	v_mul_u32_u24_e32 v5, 3, v2
	s_cselect_b64 s[0:1], -1, 0
	v_lshrrev_b32_e32 v0, 4, v0
	v_mov_b32_e32 v1, 0x180
	s_movk_i32 s2, 0x60
	v_lshlrev_b32_e32 v5, 1, v5
	v_cndmask_b32_e64 v6, 0, 1, s[0:1]
	v_lshl_add_u32 v1, v0, 6, v1
	v_mul_u32_u24_e32 v3, 0x60, v0
	v_mad_u32_u24 v15, v0, s2, v5
	s_and_b64 s[0:1], s[0:1], exec
	v_lshlrev_b32_e32 v0, v6, v4
	s_waitcnt lgkmcnt(0)
	v_mad_u64_u32 v[4:5], s[0:1], v7, s26, 0
	v_mov_b32_e32 v6, v5
	v_lshlrev_b32_e32 v12, 2, v7
	v_mad_u64_u32 v[6:7], s[0:1], v7, s27, v[6:7]
	v_mov_b32_e32 v13, s25
	v_add_co_u32_e32 v16, vcc, s24, v12
	v_mov_b32_e32 v5, v6
	v_addc_co_u32_e32 v17, vcc, 0, v13, vcc
	v_lshlrev_b64 v[4:5], 2, v[4:5]
	v_add_co_u32_e32 v18, vcc, s24, v4
	v_addc_co_u32_e32 v19, vcc, v13, v5, vcc
	s_mov_b32 s23, 0
	v_cmp_neq_f32_e64 s[4:5], s30, 0
	v_lshl_or_b32 v14, v2, 2, v1
	s_cselect_b32 s16, 1, 2
	s_mov_b32 s29, 0x5040100
	s_waitcnt vmcnt(0)
	v_subrev_co_u32_e32 v4, vcc, s17, v8
	v_subbrev_co_u32_e32 v5, vcc, 0, v9, vcc
	v_subrev_co_u32_e32 v6, vcc, s17, v10
	v_subbrev_co_u32_e32 v7, vcc, 0, v11, vcc
	v_cmp_lt_i64_e64 s[0:1], v[8:9], v[10:11]
	s_branch .LBB74_9
.LBB74_8:                               ;   in Loop: Header=BB74_9 Depth=1
	s_or_b64 exec, exec, s[2:3]
	s_add_i32 s23, s23, 16
	s_cmp_lt_i32 s23, s22
	s_cbranch_scc0 .LBB74_30
.LBB74_9:                               ; =>This Loop Header: Depth=1
                                        ;     Child Loop BB74_12 Depth 2
                                        ;       Child Loop BB74_16 Depth 3
	v_or_b32_e32 v8, s23, v2
	v_ashrrev_i32_e32 v9, 31, v8
	v_mov_b32_e32 v20, 0
	s_and_saveexec_b64 s[18:19], s[0:1]
	s_cbranch_execz .LBB74_18
; %bb.10:                               ;   in Loop: Header=BB74_9 Depth=1
	v_lshlrev_b64 v[10:11], 1, v[8:9]
	v_mov_b32_e32 v12, s15
	v_add_co_u32_e64 v21, s[2:3], s14, v10
	v_cmp_gt_i32_e32 vcc, s22, v8
	v_addc_co_u32_e64 v22, s[2:3], v12, v11, s[2:3]
	s_mov_b64 s[20:21], 0
	v_mov_b32_e32 v20, 0
	v_pk_mov_b32 v[10:11], v[4:5], v[4:5] op_sel:[0,1]
	s_branch .LBB74_12
.LBB74_11:                              ;   in Loop: Header=BB74_12 Depth=2
	s_or_b64 exec, exec, s[24:25]
	v_add_co_u32_e64 v10, s[2:3], 16, v10
	v_addc_co_u32_e64 v11, s[2:3], 0, v11, s[2:3]
	v_cmp_ge_i64_e64 s[2:3], v[10:11], v[6:7]
	s_or_b64 s[20:21], s[2:3], s[20:21]
	s_andn2_b64 exec, exec, s[20:21]
	s_cbranch_execz .LBB74_17
.LBB74_12:                              ;   Parent Loop BB74_9 Depth=1
                                        ; =>  This Loop Header: Depth=2
                                        ;       Child Loop BB74_16 Depth 3
	v_add_co_u32_e64 v12, s[2:3], v10, v2
	v_addc_co_u32_e64 v13, s[2:3], 0, v11, s[2:3]
	v_cmp_lt_i64_e64 s[2:3], v[12:13], v[6:7]
	v_mov_b32_e32 v23, 0
	v_mov_b32_e32 v24, 0
	s_and_saveexec_b64 s[24:25], s[2:3]
	s_cbranch_execz .LBB74_14
; %bb.13:                               ;   in Loop: Header=BB74_12 Depth=2
	v_lshlrev_b64 v[12:13], 2, v[12:13]
	v_mov_b32_e32 v23, s11
	v_add_co_u32_e64 v24, s[2:3], s10, v12
	v_addc_co_u32_e64 v25, s[2:3], v23, v13, s[2:3]
	v_or_b32_e32 v13, 0, v13
	v_or_b32_e32 v12, v12, v0
	global_load_dword v23, v[24:25], off
	v_lshlrev_b64 v[24:25], 1, v[12:13]
	v_mov_b32_e32 v26, s13
	v_add_co_u32_e64 v24, s[2:3], s12, v24
	v_or_b32_e32 v13, 0, v13
	v_or_b32_e32 v12, s16, v12
	v_addc_co_u32_e64 v25, s[2:3], v26, v25, s[2:3]
	v_lshlrev_b64 v[12:13], 1, v[12:13]
	v_add_co_u32_e64 v12, s[2:3], s12, v12
	v_addc_co_u32_e64 v13, s[2:3], v26, v13, s[2:3]
	global_load_ushort v26, v[24:25], off
	global_load_ushort v27, v[12:13], off
	s_waitcnt vmcnt(2)
	v_subrev_u32_e32 v12, s17, v23
	v_lshlrev_b32_e32 v23, 1, v12
	s_waitcnt vmcnt(0)
	v_perm_b32 v24, v27, v26, s29
.LBB74_14:                              ;   in Loop: Header=BB74_12 Depth=2
	s_or_b64 exec, exec, s[24:25]
	ds_write_b32 v14, v23
	ds_write_b32 v15, v24
	s_waitcnt lgkmcnt(0)
	; wave barrier
	s_waitcnt lgkmcnt(0)
	s_and_saveexec_b64 s[24:25], vcc
	s_cbranch_execz .LBB74_11
; %bb.15:                               ;   in Loop: Header=BB74_12 Depth=2
	s_mov_b32 s31, 0
	v_mov_b32_e32 v12, v3
.LBB74_16:                              ;   Parent Loop BB74_9 Depth=1
                                        ;     Parent Loop BB74_12 Depth=2
                                        ; =>    This Inner Loop Header: Depth=3
	v_add_u32_e32 v13, s31, v1
	ds_read_b64 v[24:25], v13
	s_add_i32 s31, s31, 8
	s_cmp_lg_u32 s31, 64
	s_waitcnt lgkmcnt(0)
	v_ashrrev_i32_e32 v13, 31, v24
	v_mul_lo_u32 v23, v24, s7
	v_mad_u64_u32 v[26:27], s[2:3], v24, s6, 0
	v_mul_lo_u32 v13, v13, s6
	v_add_u32_e32 v24, 1, v24
	v_ashrrev_i32_e32 v30, 31, v25
	v_add_u32_e32 v31, 1, v25
	v_add3_u32 v27, v27, v23, v13
	v_mul_lo_u32 v32, v25, s7
	v_mad_u64_u32 v[28:29], s[2:3], v25, s6, 0
	v_ashrrev_i32_e32 v33, 31, v24
	v_mul_lo_u32 v34, v24, s7
	v_mad_u64_u32 v[24:25], s[2:3], v24, s6, 0
	v_mul_lo_u32 v35, v30, s6
	v_ashrrev_i32_e32 v36, 31, v31
	v_mul_lo_u32 v37, v31, s7
	v_mad_u64_u32 v[30:31], s[2:3], v31, s6, 0
	v_lshlrev_b64 v[26:27], 1, v[26:27]
	v_add3_u32 v29, v29, v32, v35
	v_add_co_u32_e64 v26, s[2:3], v21, v26
	v_mul_lo_u32 v13, v33, s6
	v_lshlrev_b64 v[28:29], 1, v[28:29]
	v_addc_co_u32_e64 v27, s[2:3], v22, v27, s[2:3]
	v_add3_u32 v25, v25, v34, v13
	v_add_co_u32_e64 v28, s[2:3], v21, v28
	v_mul_lo_u32 v23, v36, s6
	v_lshlrev_b64 v[24:25], 1, v[24:25]
	v_addc_co_u32_e64 v29, s[2:3], v22, v29, s[2:3]
	v_add3_u32 v31, v31, v37, v23
	v_add_co_u32_e64 v24, s[2:3], v21, v24
	v_lshlrev_b64 v[30:31], 1, v[30:31]
	v_addc_co_u32_e64 v25, s[2:3], v22, v25, s[2:3]
	v_add_co_u32_e64 v30, s[2:3], v21, v30
	v_addc_co_u32_e64 v31, s[2:3], v22, v31, s[2:3]
	global_load_ushort v13, v[26:27], off
	global_load_ushort v23, v[24:25], off
	;; [unrolled: 1-line block ×4, first 2 shown]
	ds_read_b32 v24, v12
	ds_read_u16 v25, v12 offset:6
	ds_read_u16 v26, v12 offset:8
	v_add_u32_e32 v12, 12, v12
	s_waitcnt vmcnt(3) lgkmcnt(2)
	v_fma_mix_f32 v13, v24, v13, v20 op_sel_hi:[1,1,0]
	s_waitcnt vmcnt(2)
	v_fma_mix_f32 v13, v24, v23, v13 op_sel:[1,0,0] op_sel_hi:[1,1,0]
	s_waitcnt vmcnt(1) lgkmcnt(1)
	v_fma_mix_f32 v13, v25, v32, v13 op_sel_hi:[1,1,0]
	s_waitcnt vmcnt(0) lgkmcnt(0)
	v_fma_mix_f32 v20, v26, v33, v13 op_sel_hi:[1,1,0]
	s_cbranch_scc1 .LBB74_16
	s_branch .LBB74_11
.LBB74_17:                              ;   in Loop: Header=BB74_9 Depth=1
	s_or_b64 exec, exec, s[20:21]
.LBB74_18:                              ;   in Loop: Header=BB74_9 Depth=1
	s_or_b64 exec, exec, s[18:19]
	v_cmp_gt_i32_e32 vcc, s22, v8
	s_and_saveexec_b64 s[2:3], vcc
	s_cbranch_execz .LBB74_8
; %bb.19:                               ;   in Loop: Header=BB74_9 Depth=1
	s_mov_b64 s[18:19], -1
	s_and_b64 vcc, exec, s[4:5]
	s_cbranch_vccz .LBB74_25
; %bb.20:                               ;   in Loop: Header=BB74_9 Depth=1
	s_and_b64 vcc, exec, s[8:9]
	s_cbranch_vccz .LBB74_22
; %bb.21:                               ;   in Loop: Header=BB74_9 Depth=1
	v_lshlrev_b64 v[10:11], 2, v[8:9]
	v_add_co_u32_e32 v10, vcc, v18, v10
	v_addc_co_u32_e32 v11, vcc, v19, v11, vcc
	global_load_dword v12, v[10:11], off
	v_mul_f32_e32 v13, s28, v20
	s_mov_b64 s[18:19], 0
	s_waitcnt vmcnt(0)
	v_fmac_f32_e32 v13, s30, v12
	global_store_dword v[10:11], v13, off
.LBB74_22:                              ;   in Loop: Header=BB74_9 Depth=1
	s_andn2_b64 vcc, exec, s[18:19]
	s_cbranch_vccnz .LBB74_24
; %bb.23:                               ;   in Loop: Header=BB74_9 Depth=1
	v_mul_lo_u32 v12, v9, s26
	v_mul_lo_u32 v13, v8, s27
	v_mad_u64_u32 v[10:11], s[18:19], v8, s26, 0
	v_add3_u32 v11, v11, v13, v12
	v_lshlrev_b64 v[10:11], 2, v[10:11]
	v_add_co_u32_e32 v10, vcc, v16, v10
	v_addc_co_u32_e32 v11, vcc, v17, v11, vcc
	global_load_dword v12, v[10:11], off
	v_mul_f32_e32 v13, s28, v20
	s_waitcnt vmcnt(0)
	v_fmac_f32_e32 v13, s30, v12
	global_store_dword v[10:11], v13, off
.LBB74_24:                              ;   in Loop: Header=BB74_9 Depth=1
	s_mov_b64 s[18:19], 0
.LBB74_25:                              ;   in Loop: Header=BB74_9 Depth=1
	s_andn2_b64 vcc, exec, s[18:19]
	s_cbranch_vccnz .LBB74_8
; %bb.26:                               ;   in Loop: Header=BB74_9 Depth=1
	v_mul_f32_e32 v10, s28, v20
	s_mov_b64 s[18:19], -1
	s_and_b64 vcc, exec, s[8:9]
	s_cbranch_vccz .LBB74_28
; %bb.27:                               ;   in Loop: Header=BB74_9 Depth=1
	v_lshlrev_b64 v[12:13], 2, v[8:9]
	v_add_co_u32_e32 v12, vcc, v18, v12
	v_addc_co_u32_e32 v13, vcc, v19, v13, vcc
	global_store_dword v[12:13], v10, off
	s_mov_b64 s[18:19], 0
.LBB74_28:                              ;   in Loop: Header=BB74_9 Depth=1
	s_andn2_b64 vcc, exec, s[18:19]
	s_cbranch_vccnz .LBB74_8
; %bb.29:                               ;   in Loop: Header=BB74_9 Depth=1
	v_mul_lo_u32 v11, v9, s26
	v_mul_lo_u32 v12, v8, s27
	v_mad_u64_u32 v[8:9], s[18:19], v8, s26, 0
	v_add3_u32 v9, v9, v12, v11
	v_lshlrev_b64 v[8:9], 2, v[8:9]
	v_add_co_u32_e32 v8, vcc, v16, v8
	v_addc_co_u32_e32 v9, vcc, v17, v9, vcc
	global_store_dword v[8:9], v10, off
	s_branch .LBB74_8
.LBB74_30:
	s_endpgm
	.section	.rodata,"a",@progbits
	.p2align	6, 0x0
	.amdhsa_kernel _ZN9rocsparseL29bsrmmnt_small_blockdim_kernelILj64ELj16ELj2EliDF16_DF16_ffEEv20rocsparse_direction_T3_S2_llNS_24const_host_device_scalarIT7_EEPKT2_PKS2_PKT4_PKT5_llS5_PT6_ll16rocsparse_order_21rocsparse_index_base_b
		.amdhsa_group_segment_fixed_size 640
		.amdhsa_private_segment_fixed_size 0
		.amdhsa_kernarg_size 392
		.amdhsa_user_sgpr_count 6
		.amdhsa_user_sgpr_private_segment_buffer 1
		.amdhsa_user_sgpr_dispatch_ptr 0
		.amdhsa_user_sgpr_queue_ptr 0
		.amdhsa_user_sgpr_kernarg_segment_ptr 1
		.amdhsa_user_sgpr_dispatch_id 0
		.amdhsa_user_sgpr_flat_scratch_init 0
		.amdhsa_user_sgpr_kernarg_preload_length 0
		.amdhsa_user_sgpr_kernarg_preload_offset 0
		.amdhsa_user_sgpr_private_segment_size 0
		.amdhsa_uses_dynamic_stack 0
		.amdhsa_system_sgpr_private_segment_wavefront_offset 0
		.amdhsa_system_sgpr_workgroup_id_x 1
		.amdhsa_system_sgpr_workgroup_id_y 0
		.amdhsa_system_sgpr_workgroup_id_z 0
		.amdhsa_system_sgpr_workgroup_info 0
		.amdhsa_system_vgpr_workitem_id 0
		.amdhsa_next_free_vgpr 38
		.amdhsa_next_free_sgpr 32
		.amdhsa_accum_offset 40
		.amdhsa_reserve_vcc 1
		.amdhsa_reserve_flat_scratch 0
		.amdhsa_float_round_mode_32 0
		.amdhsa_float_round_mode_16_64 0
		.amdhsa_float_denorm_mode_32 3
		.amdhsa_float_denorm_mode_16_64 3
		.amdhsa_dx10_clamp 1
		.amdhsa_ieee_mode 1
		.amdhsa_fp16_overflow 0
		.amdhsa_tg_split 0
		.amdhsa_exception_fp_ieee_invalid_op 0
		.amdhsa_exception_fp_denorm_src 0
		.amdhsa_exception_fp_ieee_div_zero 0
		.amdhsa_exception_fp_ieee_overflow 0
		.amdhsa_exception_fp_ieee_underflow 0
		.amdhsa_exception_fp_ieee_inexact 0
		.amdhsa_exception_int_div_zero 0
	.end_amdhsa_kernel
	.section	.text._ZN9rocsparseL29bsrmmnt_small_blockdim_kernelILj64ELj16ELj2EliDF16_DF16_ffEEv20rocsparse_direction_T3_S2_llNS_24const_host_device_scalarIT7_EEPKT2_PKS2_PKT4_PKT5_llS5_PT6_ll16rocsparse_order_21rocsparse_index_base_b,"axG",@progbits,_ZN9rocsparseL29bsrmmnt_small_blockdim_kernelILj64ELj16ELj2EliDF16_DF16_ffEEv20rocsparse_direction_T3_S2_llNS_24const_host_device_scalarIT7_EEPKT2_PKS2_PKT4_PKT5_llS5_PT6_ll16rocsparse_order_21rocsparse_index_base_b,comdat
.Lfunc_end74:
	.size	_ZN9rocsparseL29bsrmmnt_small_blockdim_kernelILj64ELj16ELj2EliDF16_DF16_ffEEv20rocsparse_direction_T3_S2_llNS_24const_host_device_scalarIT7_EEPKT2_PKS2_PKT4_PKT5_llS5_PT6_ll16rocsparse_order_21rocsparse_index_base_b, .Lfunc_end74-_ZN9rocsparseL29bsrmmnt_small_blockdim_kernelILj64ELj16ELj2EliDF16_DF16_ffEEv20rocsparse_direction_T3_S2_llNS_24const_host_device_scalarIT7_EEPKT2_PKS2_PKT4_PKT5_llS5_PT6_ll16rocsparse_order_21rocsparse_index_base_b
                                        ; -- End function
	.section	.AMDGPU.csdata,"",@progbits
; Kernel info:
; codeLenInByte = 1468
; NumSgprs: 36
; NumVgprs: 38
; NumAgprs: 0
; TotalNumVgprs: 38
; ScratchSize: 0
; MemoryBound: 0
; FloatMode: 240
; IeeeMode: 1
; LDSByteSize: 640 bytes/workgroup (compile time only)
; SGPRBlocks: 4
; VGPRBlocks: 4
; NumSGPRsForWavesPerEU: 36
; NumVGPRsForWavesPerEU: 38
; AccumOffset: 40
; Occupancy: 8
; WaveLimiterHint : 0
; COMPUTE_PGM_RSRC2:SCRATCH_EN: 0
; COMPUTE_PGM_RSRC2:USER_SGPR: 6
; COMPUTE_PGM_RSRC2:TRAP_HANDLER: 0
; COMPUTE_PGM_RSRC2:TGID_X_EN: 1
; COMPUTE_PGM_RSRC2:TGID_Y_EN: 0
; COMPUTE_PGM_RSRC2:TGID_Z_EN: 0
; COMPUTE_PGM_RSRC2:TIDIG_COMP_CNT: 0
; COMPUTE_PGM_RSRC3_GFX90A:ACCUM_OFFSET: 9
; COMPUTE_PGM_RSRC3_GFX90A:TG_SPLIT: 0
	.section	.text._ZN9rocsparseL29bsrmmnt_small_blockdim_kernelILj64ELj32ELj2EliDF16_DF16_ffEEv20rocsparse_direction_T3_S2_llNS_24const_host_device_scalarIT7_EEPKT2_PKS2_PKT4_PKT5_llS5_PT6_ll16rocsparse_order_21rocsparse_index_base_b,"axG",@progbits,_ZN9rocsparseL29bsrmmnt_small_blockdim_kernelILj64ELj32ELj2EliDF16_DF16_ffEEv20rocsparse_direction_T3_S2_llNS_24const_host_device_scalarIT7_EEPKT2_PKS2_PKT4_PKT5_llS5_PT6_ll16rocsparse_order_21rocsparse_index_base_b,comdat
	.globl	_ZN9rocsparseL29bsrmmnt_small_blockdim_kernelILj64ELj32ELj2EliDF16_DF16_ffEEv20rocsparse_direction_T3_S2_llNS_24const_host_device_scalarIT7_EEPKT2_PKS2_PKT4_PKT5_llS5_PT6_ll16rocsparse_order_21rocsparse_index_base_b ; -- Begin function _ZN9rocsparseL29bsrmmnt_small_blockdim_kernelILj64ELj32ELj2EliDF16_DF16_ffEEv20rocsparse_direction_T3_S2_llNS_24const_host_device_scalarIT7_EEPKT2_PKS2_PKT4_PKT5_llS5_PT6_ll16rocsparse_order_21rocsparse_index_base_b
	.p2align	8
	.type	_ZN9rocsparseL29bsrmmnt_small_blockdim_kernelILj64ELj32ELj2EliDF16_DF16_ffEEv20rocsparse_direction_T3_S2_llNS_24const_host_device_scalarIT7_EEPKT2_PKS2_PKT4_PKT5_llS5_PT6_ll16rocsparse_order_21rocsparse_index_base_b,@function
_ZN9rocsparseL29bsrmmnt_small_blockdim_kernelILj64ELj32ELj2EliDF16_DF16_ffEEv20rocsparse_direction_T3_S2_llNS_24const_host_device_scalarIT7_EEPKT2_PKS2_PKT4_PKT5_llS5_PT6_ll16rocsparse_order_21rocsparse_index_base_b: ; @_ZN9rocsparseL29bsrmmnt_small_blockdim_kernelILj64ELj32ELj2EliDF16_DF16_ffEEv20rocsparse_direction_T3_S2_llNS_24const_host_device_scalarIT7_EEPKT2_PKS2_PKT4_PKT5_llS5_PT6_ll16rocsparse_order_21rocsparse_index_base_b
; %bb.0:
	s_load_dwordx4 s[16:19], s[4:5], 0x78
	s_load_dwordx2 s[28:29], s[4:5], 0x20
	s_load_dwordx2 s[30:31], s[4:5], 0x58
	s_waitcnt lgkmcnt(0)
	s_bitcmp1_b32 s18, 0
	s_cselect_b64 s[2:3], -1, 0
	s_xor_b64 s[0:1], s[2:3], -1
	s_and_b64 vcc, exec, s[2:3]
	s_cbranch_vccnz .LBB75_2
; %bb.1:
	s_load_dword s28, s[28:29], 0x0
.LBB75_2:
	s_andn2_b64 vcc, exec, s[0:1]
	s_cbranch_vccnz .LBB75_4
; %bb.3:
	s_load_dword s30, s[30:31], 0x0
.LBB75_4:
	s_waitcnt lgkmcnt(0)
	v_cmp_eq_f32_e64 s[0:1], s28, 0
	v_cmp_eq_f32_e64 s[2:3], s30, 1.0
	s_and_b64 s[0:1], s[0:1], s[2:3]
	s_and_b64 vcc, exec, s[0:1]
	s_cbranch_vccnz .LBB75_30
; %bb.5:
	s_load_dword s0, s[4:5], 0x94
	s_load_dwordx4 s[20:23], s[4:5], 0x0
	s_waitcnt lgkmcnt(0)
	s_and_b32 s0, s0, 0xffff
	s_mul_i32 s6, s6, s0
	v_add_u32_e32 v1, s6, v0
	v_lshrrev_b32_e32 v2, 6, v1
	v_cmp_gt_i32_e32 vcc, s21, v2
	s_and_saveexec_b64 s[0:1], vcc
	s_cbranch_execz .LBB75_30
; %bb.6:
	s_cmp_lt_i32 s22, 1
	s_cbranch_scc1 .LBB75_30
; %bb.7:
	s_load_dwordx8 s[8:15], s[4:5], 0x28
	v_lshlrev_b32_e32 v2, 3, v2
	s_cmp_lg_u32 s16, 1
	v_lshrrev_b32_e32 v7, 5, v1
	v_bfe_u32 v4, v1, 5, 1
	s_waitcnt lgkmcnt(0)
	global_load_dwordx4 v[8:11], v2, s[8:9]
	s_load_dwordx4 s[24:27], s[4:5], 0x60
	s_load_dwordx2 s[6:7], s[4:5], 0x48
	v_and_b32_e32 v2, 31, v0
	s_cselect_b64 s[8:9], -1, 0
	s_cmp_eq_u32 s20, 0
	v_mul_u32_u24_e32 v5, 3, v2
	s_cselect_b64 s[0:1], -1, 0
	v_lshrrev_b32_e32 v0, 5, v0
	v_mov_b32_e32 v1, 0x180
	s_movk_i32 s2, 0xc0
	v_lshlrev_b32_e32 v5, 1, v5
	v_cndmask_b32_e64 v6, 0, 1, s[0:1]
	v_lshl_add_u32 v1, v0, 7, v1
	v_mul_u32_u24_e32 v3, 0xc0, v0
	v_mad_u32_u24 v15, v0, s2, v5
	s_and_b64 s[0:1], s[0:1], exec
	v_lshlrev_b32_e32 v0, v6, v4
	s_waitcnt lgkmcnt(0)
	v_mad_u64_u32 v[4:5], s[0:1], v7, s26, 0
	v_mov_b32_e32 v6, v5
	v_lshlrev_b32_e32 v12, 2, v7
	v_mad_u64_u32 v[6:7], s[0:1], v7, s27, v[6:7]
	v_mov_b32_e32 v13, s25
	v_add_co_u32_e32 v16, vcc, s24, v12
	v_mov_b32_e32 v5, v6
	v_addc_co_u32_e32 v17, vcc, 0, v13, vcc
	v_lshlrev_b64 v[4:5], 2, v[4:5]
	v_add_co_u32_e32 v18, vcc, s24, v4
	v_addc_co_u32_e32 v19, vcc, v13, v5, vcc
	s_mov_b32 s23, 0
	v_cmp_neq_f32_e64 s[4:5], s30, 0
	v_lshl_or_b32 v14, v2, 2, v1
	s_cselect_b32 s16, 1, 2
	s_mov_b32 s29, 0x5040100
	s_waitcnt vmcnt(0)
	v_subrev_co_u32_e32 v4, vcc, s17, v8
	v_subbrev_co_u32_e32 v5, vcc, 0, v9, vcc
	v_subrev_co_u32_e32 v6, vcc, s17, v10
	v_subbrev_co_u32_e32 v7, vcc, 0, v11, vcc
	v_cmp_lt_i64_e64 s[0:1], v[8:9], v[10:11]
	s_branch .LBB75_9
.LBB75_8:                               ;   in Loop: Header=BB75_9 Depth=1
	s_or_b64 exec, exec, s[2:3]
	s_add_i32 s23, s23, 32
	s_cmp_lt_i32 s23, s22
	s_cbranch_scc0 .LBB75_30
.LBB75_9:                               ; =>This Loop Header: Depth=1
                                        ;     Child Loop BB75_12 Depth 2
                                        ;       Child Loop BB75_16 Depth 3
	v_or_b32_e32 v8, s23, v2
	v_ashrrev_i32_e32 v9, 31, v8
	v_mov_b32_e32 v20, 0
	s_and_saveexec_b64 s[18:19], s[0:1]
	s_cbranch_execz .LBB75_18
; %bb.10:                               ;   in Loop: Header=BB75_9 Depth=1
	v_lshlrev_b64 v[10:11], 1, v[8:9]
	v_mov_b32_e32 v12, s15
	v_add_co_u32_e64 v21, s[2:3], s14, v10
	v_cmp_gt_i32_e32 vcc, s22, v8
	v_addc_co_u32_e64 v22, s[2:3], v12, v11, s[2:3]
	s_mov_b64 s[20:21], 0
	v_mov_b32_e32 v20, 0
	v_pk_mov_b32 v[10:11], v[4:5], v[4:5] op_sel:[0,1]
	s_branch .LBB75_12
.LBB75_11:                              ;   in Loop: Header=BB75_12 Depth=2
	s_or_b64 exec, exec, s[24:25]
	v_add_co_u32_e64 v10, s[2:3], 32, v10
	v_addc_co_u32_e64 v11, s[2:3], 0, v11, s[2:3]
	v_cmp_ge_i64_e64 s[2:3], v[10:11], v[6:7]
	s_or_b64 s[20:21], s[2:3], s[20:21]
	s_andn2_b64 exec, exec, s[20:21]
	s_cbranch_execz .LBB75_17
.LBB75_12:                              ;   Parent Loop BB75_9 Depth=1
                                        ; =>  This Loop Header: Depth=2
                                        ;       Child Loop BB75_16 Depth 3
	v_add_co_u32_e64 v12, s[2:3], v10, v2
	v_addc_co_u32_e64 v13, s[2:3], 0, v11, s[2:3]
	v_cmp_lt_i64_e64 s[2:3], v[12:13], v[6:7]
	v_mov_b32_e32 v23, 0
	v_mov_b32_e32 v24, 0
	s_and_saveexec_b64 s[24:25], s[2:3]
	s_cbranch_execz .LBB75_14
; %bb.13:                               ;   in Loop: Header=BB75_12 Depth=2
	v_lshlrev_b64 v[12:13], 2, v[12:13]
	v_mov_b32_e32 v23, s11
	v_add_co_u32_e64 v24, s[2:3], s10, v12
	v_addc_co_u32_e64 v25, s[2:3], v23, v13, s[2:3]
	v_or_b32_e32 v13, 0, v13
	v_or_b32_e32 v12, v12, v0
	global_load_dword v23, v[24:25], off
	v_lshlrev_b64 v[24:25], 1, v[12:13]
	v_mov_b32_e32 v26, s13
	v_add_co_u32_e64 v24, s[2:3], s12, v24
	v_or_b32_e32 v13, 0, v13
	v_or_b32_e32 v12, s16, v12
	v_addc_co_u32_e64 v25, s[2:3], v26, v25, s[2:3]
	v_lshlrev_b64 v[12:13], 1, v[12:13]
	v_add_co_u32_e64 v12, s[2:3], s12, v12
	v_addc_co_u32_e64 v13, s[2:3], v26, v13, s[2:3]
	global_load_ushort v26, v[24:25], off
	global_load_ushort v27, v[12:13], off
	s_waitcnt vmcnt(2)
	v_subrev_u32_e32 v12, s17, v23
	v_lshlrev_b32_e32 v23, 1, v12
	s_waitcnt vmcnt(0)
	v_perm_b32 v24, v27, v26, s29
.LBB75_14:                              ;   in Loop: Header=BB75_12 Depth=2
	s_or_b64 exec, exec, s[24:25]
	ds_write_b32 v14, v23
	ds_write_b32 v15, v24
	s_waitcnt lgkmcnt(0)
	; wave barrier
	s_waitcnt lgkmcnt(0)
	s_and_saveexec_b64 s[24:25], vcc
	s_cbranch_execz .LBB75_11
; %bb.15:                               ;   in Loop: Header=BB75_12 Depth=2
	s_mov_b32 s31, 0
	v_mov_b32_e32 v12, v3
.LBB75_16:                              ;   Parent Loop BB75_9 Depth=1
                                        ;     Parent Loop BB75_12 Depth=2
                                        ; =>    This Inner Loop Header: Depth=3
	v_add_u32_e32 v13, s31, v1
	ds_read_b64 v[24:25], v13
	s_add_i32 s31, s31, 8
	s_cmpk_lg_i32 s31, 0x80
	s_waitcnt lgkmcnt(0)
	v_ashrrev_i32_e32 v13, 31, v24
	v_mul_lo_u32 v23, v24, s7
	v_mad_u64_u32 v[26:27], s[2:3], v24, s6, 0
	v_mul_lo_u32 v13, v13, s6
	v_add_u32_e32 v24, 1, v24
	v_ashrrev_i32_e32 v30, 31, v25
	v_add_u32_e32 v31, 1, v25
	v_add3_u32 v27, v27, v23, v13
	v_mul_lo_u32 v32, v25, s7
	v_mad_u64_u32 v[28:29], s[2:3], v25, s6, 0
	v_ashrrev_i32_e32 v33, 31, v24
	v_mul_lo_u32 v34, v24, s7
	v_mad_u64_u32 v[24:25], s[2:3], v24, s6, 0
	v_mul_lo_u32 v35, v30, s6
	v_ashrrev_i32_e32 v36, 31, v31
	v_mul_lo_u32 v37, v31, s7
	v_mad_u64_u32 v[30:31], s[2:3], v31, s6, 0
	v_lshlrev_b64 v[26:27], 1, v[26:27]
	v_add3_u32 v29, v29, v32, v35
	v_add_co_u32_e64 v26, s[2:3], v21, v26
	v_mul_lo_u32 v13, v33, s6
	v_lshlrev_b64 v[28:29], 1, v[28:29]
	v_addc_co_u32_e64 v27, s[2:3], v22, v27, s[2:3]
	v_add3_u32 v25, v25, v34, v13
	v_add_co_u32_e64 v28, s[2:3], v21, v28
	v_mul_lo_u32 v23, v36, s6
	v_lshlrev_b64 v[24:25], 1, v[24:25]
	v_addc_co_u32_e64 v29, s[2:3], v22, v29, s[2:3]
	v_add3_u32 v31, v31, v37, v23
	v_add_co_u32_e64 v24, s[2:3], v21, v24
	v_lshlrev_b64 v[30:31], 1, v[30:31]
	v_addc_co_u32_e64 v25, s[2:3], v22, v25, s[2:3]
	v_add_co_u32_e64 v30, s[2:3], v21, v30
	v_addc_co_u32_e64 v31, s[2:3], v22, v31, s[2:3]
	global_load_ushort v13, v[26:27], off
	global_load_ushort v23, v[24:25], off
	;; [unrolled: 1-line block ×4, first 2 shown]
	ds_read_b32 v24, v12
	ds_read_u16 v25, v12 offset:6
	ds_read_u16 v26, v12 offset:8
	v_add_u32_e32 v12, 12, v12
	s_waitcnt vmcnt(3) lgkmcnt(2)
	v_fma_mix_f32 v13, v24, v13, v20 op_sel_hi:[1,1,0]
	s_waitcnt vmcnt(2)
	v_fma_mix_f32 v13, v24, v23, v13 op_sel:[1,0,0] op_sel_hi:[1,1,0]
	s_waitcnt vmcnt(1) lgkmcnt(1)
	v_fma_mix_f32 v13, v25, v32, v13 op_sel_hi:[1,1,0]
	s_waitcnt vmcnt(0) lgkmcnt(0)
	v_fma_mix_f32 v20, v26, v33, v13 op_sel_hi:[1,1,0]
	s_cbranch_scc1 .LBB75_16
	s_branch .LBB75_11
.LBB75_17:                              ;   in Loop: Header=BB75_9 Depth=1
	s_or_b64 exec, exec, s[20:21]
.LBB75_18:                              ;   in Loop: Header=BB75_9 Depth=1
	s_or_b64 exec, exec, s[18:19]
	v_cmp_gt_i32_e32 vcc, s22, v8
	s_and_saveexec_b64 s[2:3], vcc
	s_cbranch_execz .LBB75_8
; %bb.19:                               ;   in Loop: Header=BB75_9 Depth=1
	s_mov_b64 s[18:19], -1
	s_and_b64 vcc, exec, s[4:5]
	s_cbranch_vccz .LBB75_25
; %bb.20:                               ;   in Loop: Header=BB75_9 Depth=1
	s_and_b64 vcc, exec, s[8:9]
	s_cbranch_vccz .LBB75_22
; %bb.21:                               ;   in Loop: Header=BB75_9 Depth=1
	v_lshlrev_b64 v[10:11], 2, v[8:9]
	v_add_co_u32_e32 v10, vcc, v18, v10
	v_addc_co_u32_e32 v11, vcc, v19, v11, vcc
	global_load_dword v12, v[10:11], off
	v_mul_f32_e32 v13, s28, v20
	s_mov_b64 s[18:19], 0
	s_waitcnt vmcnt(0)
	v_fmac_f32_e32 v13, s30, v12
	global_store_dword v[10:11], v13, off
.LBB75_22:                              ;   in Loop: Header=BB75_9 Depth=1
	s_andn2_b64 vcc, exec, s[18:19]
	s_cbranch_vccnz .LBB75_24
; %bb.23:                               ;   in Loop: Header=BB75_9 Depth=1
	v_mul_lo_u32 v12, v9, s26
	v_mul_lo_u32 v13, v8, s27
	v_mad_u64_u32 v[10:11], s[18:19], v8, s26, 0
	v_add3_u32 v11, v11, v13, v12
	v_lshlrev_b64 v[10:11], 2, v[10:11]
	v_add_co_u32_e32 v10, vcc, v16, v10
	v_addc_co_u32_e32 v11, vcc, v17, v11, vcc
	global_load_dword v12, v[10:11], off
	v_mul_f32_e32 v13, s28, v20
	s_waitcnt vmcnt(0)
	v_fmac_f32_e32 v13, s30, v12
	global_store_dword v[10:11], v13, off
.LBB75_24:                              ;   in Loop: Header=BB75_9 Depth=1
	s_mov_b64 s[18:19], 0
.LBB75_25:                              ;   in Loop: Header=BB75_9 Depth=1
	s_andn2_b64 vcc, exec, s[18:19]
	s_cbranch_vccnz .LBB75_8
; %bb.26:                               ;   in Loop: Header=BB75_9 Depth=1
	v_mul_f32_e32 v10, s28, v20
	s_mov_b64 s[18:19], -1
	s_and_b64 vcc, exec, s[8:9]
	s_cbranch_vccz .LBB75_28
; %bb.27:                               ;   in Loop: Header=BB75_9 Depth=1
	v_lshlrev_b64 v[12:13], 2, v[8:9]
	v_add_co_u32_e32 v12, vcc, v18, v12
	v_addc_co_u32_e32 v13, vcc, v19, v13, vcc
	global_store_dword v[12:13], v10, off
	s_mov_b64 s[18:19], 0
.LBB75_28:                              ;   in Loop: Header=BB75_9 Depth=1
	s_andn2_b64 vcc, exec, s[18:19]
	s_cbranch_vccnz .LBB75_8
; %bb.29:                               ;   in Loop: Header=BB75_9 Depth=1
	v_mul_lo_u32 v11, v9, s26
	v_mul_lo_u32 v12, v8, s27
	v_mad_u64_u32 v[8:9], s[18:19], v8, s26, 0
	v_add3_u32 v9, v9, v12, v11
	v_lshlrev_b64 v[8:9], 2, v[8:9]
	v_add_co_u32_e32 v8, vcc, v16, v8
	v_addc_co_u32_e32 v9, vcc, v17, v9, vcc
	global_store_dword v[8:9], v10, off
	s_branch .LBB75_8
.LBB75_30:
	s_endpgm
	.section	.rodata,"a",@progbits
	.p2align	6, 0x0
	.amdhsa_kernel _ZN9rocsparseL29bsrmmnt_small_blockdim_kernelILj64ELj32ELj2EliDF16_DF16_ffEEv20rocsparse_direction_T3_S2_llNS_24const_host_device_scalarIT7_EEPKT2_PKS2_PKT4_PKT5_llS5_PT6_ll16rocsparse_order_21rocsparse_index_base_b
		.amdhsa_group_segment_fixed_size 640
		.amdhsa_private_segment_fixed_size 0
		.amdhsa_kernarg_size 392
		.amdhsa_user_sgpr_count 6
		.amdhsa_user_sgpr_private_segment_buffer 1
		.amdhsa_user_sgpr_dispatch_ptr 0
		.amdhsa_user_sgpr_queue_ptr 0
		.amdhsa_user_sgpr_kernarg_segment_ptr 1
		.amdhsa_user_sgpr_dispatch_id 0
		.amdhsa_user_sgpr_flat_scratch_init 0
		.amdhsa_user_sgpr_kernarg_preload_length 0
		.amdhsa_user_sgpr_kernarg_preload_offset 0
		.amdhsa_user_sgpr_private_segment_size 0
		.amdhsa_uses_dynamic_stack 0
		.amdhsa_system_sgpr_private_segment_wavefront_offset 0
		.amdhsa_system_sgpr_workgroup_id_x 1
		.amdhsa_system_sgpr_workgroup_id_y 0
		.amdhsa_system_sgpr_workgroup_id_z 0
		.amdhsa_system_sgpr_workgroup_info 0
		.amdhsa_system_vgpr_workitem_id 0
		.amdhsa_next_free_vgpr 38
		.amdhsa_next_free_sgpr 32
		.amdhsa_accum_offset 40
		.amdhsa_reserve_vcc 1
		.amdhsa_reserve_flat_scratch 0
		.amdhsa_float_round_mode_32 0
		.amdhsa_float_round_mode_16_64 0
		.amdhsa_float_denorm_mode_32 3
		.amdhsa_float_denorm_mode_16_64 3
		.amdhsa_dx10_clamp 1
		.amdhsa_ieee_mode 1
		.amdhsa_fp16_overflow 0
		.amdhsa_tg_split 0
		.amdhsa_exception_fp_ieee_invalid_op 0
		.amdhsa_exception_fp_denorm_src 0
		.amdhsa_exception_fp_ieee_div_zero 0
		.amdhsa_exception_fp_ieee_overflow 0
		.amdhsa_exception_fp_ieee_underflow 0
		.amdhsa_exception_fp_ieee_inexact 0
		.amdhsa_exception_int_div_zero 0
	.end_amdhsa_kernel
	.section	.text._ZN9rocsparseL29bsrmmnt_small_blockdim_kernelILj64ELj32ELj2EliDF16_DF16_ffEEv20rocsparse_direction_T3_S2_llNS_24const_host_device_scalarIT7_EEPKT2_PKS2_PKT4_PKT5_llS5_PT6_ll16rocsparse_order_21rocsparse_index_base_b,"axG",@progbits,_ZN9rocsparseL29bsrmmnt_small_blockdim_kernelILj64ELj32ELj2EliDF16_DF16_ffEEv20rocsparse_direction_T3_S2_llNS_24const_host_device_scalarIT7_EEPKT2_PKS2_PKT4_PKT5_llS5_PT6_ll16rocsparse_order_21rocsparse_index_base_b,comdat
.Lfunc_end75:
	.size	_ZN9rocsparseL29bsrmmnt_small_blockdim_kernelILj64ELj32ELj2EliDF16_DF16_ffEEv20rocsparse_direction_T3_S2_llNS_24const_host_device_scalarIT7_EEPKT2_PKS2_PKT4_PKT5_llS5_PT6_ll16rocsparse_order_21rocsparse_index_base_b, .Lfunc_end75-_ZN9rocsparseL29bsrmmnt_small_blockdim_kernelILj64ELj32ELj2EliDF16_DF16_ffEEv20rocsparse_direction_T3_S2_llNS_24const_host_device_scalarIT7_EEPKT2_PKS2_PKT4_PKT5_llS5_PT6_ll16rocsparse_order_21rocsparse_index_base_b
                                        ; -- End function
	.section	.AMDGPU.csdata,"",@progbits
; Kernel info:
; codeLenInByte = 1468
; NumSgprs: 36
; NumVgprs: 38
; NumAgprs: 0
; TotalNumVgprs: 38
; ScratchSize: 0
; MemoryBound: 0
; FloatMode: 240
; IeeeMode: 1
; LDSByteSize: 640 bytes/workgroup (compile time only)
; SGPRBlocks: 4
; VGPRBlocks: 4
; NumSGPRsForWavesPerEU: 36
; NumVGPRsForWavesPerEU: 38
; AccumOffset: 40
; Occupancy: 8
; WaveLimiterHint : 0
; COMPUTE_PGM_RSRC2:SCRATCH_EN: 0
; COMPUTE_PGM_RSRC2:USER_SGPR: 6
; COMPUTE_PGM_RSRC2:TRAP_HANDLER: 0
; COMPUTE_PGM_RSRC2:TGID_X_EN: 1
; COMPUTE_PGM_RSRC2:TGID_Y_EN: 0
; COMPUTE_PGM_RSRC2:TGID_Z_EN: 0
; COMPUTE_PGM_RSRC2:TIDIG_COMP_CNT: 0
; COMPUTE_PGM_RSRC3_GFX90A:ACCUM_OFFSET: 9
; COMPUTE_PGM_RSRC3_GFX90A:TG_SPLIT: 0
	.section	.text._ZN9rocsparseL29bsrmmnt_small_blockdim_kernelILj64ELj64ELj2EliDF16_DF16_ffEEv20rocsparse_direction_T3_S2_llNS_24const_host_device_scalarIT7_EEPKT2_PKS2_PKT4_PKT5_llS5_PT6_ll16rocsparse_order_21rocsparse_index_base_b,"axG",@progbits,_ZN9rocsparseL29bsrmmnt_small_blockdim_kernelILj64ELj64ELj2EliDF16_DF16_ffEEv20rocsparse_direction_T3_S2_llNS_24const_host_device_scalarIT7_EEPKT2_PKS2_PKT4_PKT5_llS5_PT6_ll16rocsparse_order_21rocsparse_index_base_b,comdat
	.globl	_ZN9rocsparseL29bsrmmnt_small_blockdim_kernelILj64ELj64ELj2EliDF16_DF16_ffEEv20rocsparse_direction_T3_S2_llNS_24const_host_device_scalarIT7_EEPKT2_PKS2_PKT4_PKT5_llS5_PT6_ll16rocsparse_order_21rocsparse_index_base_b ; -- Begin function _ZN9rocsparseL29bsrmmnt_small_blockdim_kernelILj64ELj64ELj2EliDF16_DF16_ffEEv20rocsparse_direction_T3_S2_llNS_24const_host_device_scalarIT7_EEPKT2_PKS2_PKT4_PKT5_llS5_PT6_ll16rocsparse_order_21rocsparse_index_base_b
	.p2align	8
	.type	_ZN9rocsparseL29bsrmmnt_small_blockdim_kernelILj64ELj64ELj2EliDF16_DF16_ffEEv20rocsparse_direction_T3_S2_llNS_24const_host_device_scalarIT7_EEPKT2_PKS2_PKT4_PKT5_llS5_PT6_ll16rocsparse_order_21rocsparse_index_base_b,@function
_ZN9rocsparseL29bsrmmnt_small_blockdim_kernelILj64ELj64ELj2EliDF16_DF16_ffEEv20rocsparse_direction_T3_S2_llNS_24const_host_device_scalarIT7_EEPKT2_PKS2_PKT4_PKT5_llS5_PT6_ll16rocsparse_order_21rocsparse_index_base_b: ; @_ZN9rocsparseL29bsrmmnt_small_blockdim_kernelILj64ELj64ELj2EliDF16_DF16_ffEEv20rocsparse_direction_T3_S2_llNS_24const_host_device_scalarIT7_EEPKT2_PKS2_PKT4_PKT5_llS5_PT6_ll16rocsparse_order_21rocsparse_index_base_b
; %bb.0:
	s_load_dwordx4 s[16:19], s[4:5], 0x78
	s_load_dwordx2 s[28:29], s[4:5], 0x20
	s_load_dwordx2 s[30:31], s[4:5], 0x58
	s_waitcnt lgkmcnt(0)
	s_bitcmp1_b32 s18, 0
	s_cselect_b64 s[2:3], -1, 0
	s_xor_b64 s[0:1], s[2:3], -1
	s_and_b64 vcc, exec, s[2:3]
	s_cbranch_vccnz .LBB76_2
; %bb.1:
	s_load_dword s28, s[28:29], 0x0
.LBB76_2:
	s_andn2_b64 vcc, exec, s[0:1]
	s_cbranch_vccnz .LBB76_4
; %bb.3:
	s_load_dword s30, s[30:31], 0x0
.LBB76_4:
	s_waitcnt lgkmcnt(0)
	v_cmp_eq_f32_e64 s[0:1], s28, 0
	v_cmp_eq_f32_e64 s[2:3], s30, 1.0
	s_and_b64 s[0:1], s[0:1], s[2:3]
	s_and_b64 vcc, exec, s[0:1]
	s_cbranch_vccnz .LBB76_30
; %bb.5:
	s_load_dword s0, s[4:5], 0x94
	s_load_dwordx4 s[20:23], s[4:5], 0x0
	s_waitcnt lgkmcnt(0)
	s_and_b32 s0, s0, 0xffff
	s_mul_i32 s6, s6, s0
	v_add_u32_e32 v1, s6, v0
	v_lshrrev_b32_e32 v2, 7, v1
	v_cmp_gt_i32_e32 vcc, s21, v2
	s_and_saveexec_b64 s[0:1], vcc
	s_cbranch_execz .LBB76_30
; %bb.6:
	s_cmp_lt_i32 s22, 1
	s_cbranch_scc1 .LBB76_30
; %bb.7:
	s_load_dwordx8 s[8:15], s[4:5], 0x28
	v_lshlrev_b32_e32 v2, 3, v2
	s_cmp_lg_u32 s16, 1
	v_mul_u32_u24_e32 v4, 3, v0
	v_lshrrev_b32_e32 v7, 6, v1
	s_waitcnt lgkmcnt(0)
	global_load_dwordx4 v[8:11], v2, s[8:9]
	s_load_dwordx4 s[24:27], s[4:5], 0x60
	s_load_dwordx2 s[6:7], s[4:5], 0x48
	s_cselect_b64 s[8:9], -1, 0
	s_cmp_eq_u32 s20, 0
	s_cselect_b64 s[0:1], -1, 0
	v_bfe_u32 v2, v1, 6, 1
	v_lshlrev_b32_e32 v14, 1, v4
	v_cndmask_b32_e64 v4, 0, 1, s[0:1]
	s_and_b64 s[0:1], s[0:1], exec
	v_lshlrev_b32_e32 v2, v4, v2
	s_waitcnt lgkmcnt(0)
	v_mad_u64_u32 v[4:5], s[0:1], v7, s26, 0
	v_mov_b32_e32 v6, v5
	v_lshlrev_b32_e32 v12, 2, v7
	v_mad_u64_u32 v[6:7], s[0:1], v7, s27, v[6:7]
	v_mov_b32_e32 v13, s25
	v_add_co_u32_e32 v15, vcc, s24, v12
	v_mov_b32_e32 v5, v6
	v_addc_co_u32_e32 v16, vcc, 0, v13, vcc
	v_lshlrev_b64 v[4:5], 2, v[4:5]
	v_add_co_u32_e32 v17, vcc, s24, v4
	v_addc_co_u32_e32 v18, vcc, v13, v5, vcc
	v_mov_b32_e32 v1, 0x180
	s_mov_b32 s23, 0
	v_cmp_neq_f32_e64 s[4:5], s30, 0
	v_lshl_add_u32 v3, v0, 2, v1
	s_cselect_b32 s16, 1, 2
	s_mov_b32 s29, 0x5040100
	s_waitcnt vmcnt(0)
	v_subrev_co_u32_e32 v4, vcc, s17, v8
	v_subbrev_co_u32_e32 v5, vcc, 0, v9, vcc
	v_subrev_co_u32_e32 v6, vcc, s17, v10
	v_subbrev_co_u32_e32 v7, vcc, 0, v11, vcc
	v_cmp_lt_i64_e64 s[0:1], v[8:9], v[10:11]
	s_branch .LBB76_9
.LBB76_8:                               ;   in Loop: Header=BB76_9 Depth=1
	s_or_b64 exec, exec, s[2:3]
	s_add_i32 s23, s23, 64
	s_cmp_lt_i32 s23, s22
	s_cbranch_scc0 .LBB76_30
.LBB76_9:                               ; =>This Loop Header: Depth=1
                                        ;     Child Loop BB76_12 Depth 2
                                        ;       Child Loop BB76_16 Depth 3
	v_or_b32_e32 v8, s23, v0
	v_mov_b32_e32 v19, 0
	v_ashrrev_i32_e32 v9, 31, v8
	s_and_saveexec_b64 s[18:19], s[0:1]
	s_cbranch_execz .LBB76_18
; %bb.10:                               ;   in Loop: Header=BB76_9 Depth=1
	v_lshlrev_b64 v[10:11], 1, v[8:9]
	v_mov_b32_e32 v12, s15
	v_add_co_u32_e64 v20, s[2:3], s14, v10
	v_cmp_gt_i32_e32 vcc, s22, v8
	v_addc_co_u32_e64 v21, s[2:3], v12, v11, s[2:3]
	s_mov_b64 s[20:21], 0
	v_mov_b32_e32 v19, 0
	v_pk_mov_b32 v[10:11], v[4:5], v[4:5] op_sel:[0,1]
	s_branch .LBB76_12
.LBB76_11:                              ;   in Loop: Header=BB76_12 Depth=2
	s_or_b64 exec, exec, s[24:25]
	v_add_co_u32_e64 v10, s[2:3], 64, v10
	v_addc_co_u32_e64 v11, s[2:3], 0, v11, s[2:3]
	v_cmp_ge_i64_e64 s[2:3], v[10:11], v[6:7]
	s_or_b64 s[20:21], s[2:3], s[20:21]
	s_andn2_b64 exec, exec, s[20:21]
	s_cbranch_execz .LBB76_17
.LBB76_12:                              ;   Parent Loop BB76_9 Depth=1
                                        ; =>  This Loop Header: Depth=2
                                        ;       Child Loop BB76_16 Depth 3
	v_add_co_u32_e64 v12, s[2:3], v10, v0
	v_addc_co_u32_e64 v13, s[2:3], 0, v11, s[2:3]
	v_cmp_lt_i64_e64 s[2:3], v[12:13], v[6:7]
	v_mov_b32_e32 v22, 0
	v_mov_b32_e32 v23, 0
	s_and_saveexec_b64 s[24:25], s[2:3]
	s_cbranch_execz .LBB76_14
; %bb.13:                               ;   in Loop: Header=BB76_12 Depth=2
	v_lshlrev_b64 v[12:13], 2, v[12:13]
	v_mov_b32_e32 v23, s11
	v_add_co_u32_e64 v22, s[2:3], s10, v12
	v_addc_co_u32_e64 v23, s[2:3], v23, v13, s[2:3]
	v_or_b32_e32 v13, 0, v13
	v_or_b32_e32 v12, v12, v2
	global_load_dword v24, v[22:23], off
	v_lshlrev_b64 v[22:23], 1, v[12:13]
	v_mov_b32_e32 v25, s13
	v_add_co_u32_e64 v22, s[2:3], s12, v22
	v_or_b32_e32 v13, 0, v13
	v_or_b32_e32 v12, s16, v12
	v_addc_co_u32_e64 v23, s[2:3], v25, v23, s[2:3]
	v_lshlrev_b64 v[12:13], 1, v[12:13]
	v_add_co_u32_e64 v12, s[2:3], s12, v12
	v_addc_co_u32_e64 v13, s[2:3], v25, v13, s[2:3]
	global_load_ushort v25, v[22:23], off
	global_load_ushort v26, v[12:13], off
	s_waitcnt vmcnt(2)
	v_subrev_u32_e32 v12, s17, v24
	v_lshlrev_b32_e32 v22, 1, v12
	s_waitcnt vmcnt(0)
	v_perm_b32 v23, v26, v25, s29
.LBB76_14:                              ;   in Loop: Header=BB76_12 Depth=2
	s_or_b64 exec, exec, s[24:25]
	ds_write_b32 v3, v22
	ds_write_b32 v14, v23
	s_waitcnt lgkmcnt(0)
	; wave barrier
	s_waitcnt lgkmcnt(0)
	s_and_saveexec_b64 s[24:25], vcc
	s_cbranch_execz .LBB76_11
; %bb.15:                               ;   in Loop: Header=BB76_12 Depth=2
	s_mov_b32 s31, 0
	v_mov_b32_e32 v12, 0
.LBB76_16:                              ;   Parent Loop BB76_9 Depth=1
                                        ;     Parent Loop BB76_12 Depth=2
                                        ; =>    This Inner Loop Header: Depth=3
	v_add_u32_e32 v13, s31, v1
	ds_read_b64 v[22:23], v13
	s_add_i32 s31, s31, 8
	s_cmpk_lg_i32 s31, 0x100
	s_waitcnt lgkmcnt(0)
	v_ashrrev_i32_e32 v13, 31, v22
	v_mul_lo_u32 v30, v22, s7
	v_mad_u64_u32 v[24:25], s[2:3], v22, s6, 0
	v_mul_lo_u32 v13, v13, s6
	v_add_u32_e32 v22, 1, v22
	v_ashrrev_i32_e32 v28, 31, v23
	v_add_u32_e32 v29, 1, v23
	v_add3_u32 v25, v25, v30, v13
	v_mul_lo_u32 v31, v23, s7
	v_mad_u64_u32 v[26:27], s[2:3], v23, s6, 0
	v_ashrrev_i32_e32 v32, 31, v22
	v_mul_lo_u32 v33, v22, s7
	v_mad_u64_u32 v[22:23], s[2:3], v22, s6, 0
	v_mul_lo_u32 v34, v28, s6
	v_ashrrev_i32_e32 v35, 31, v29
	v_mul_lo_u32 v36, v29, s7
	v_mad_u64_u32 v[28:29], s[2:3], v29, s6, 0
	v_lshlrev_b64 v[24:25], 1, v[24:25]
	v_add3_u32 v27, v27, v31, v34
	v_add_co_u32_e64 v24, s[2:3], v20, v24
	v_mul_lo_u32 v13, v32, s6
	v_lshlrev_b64 v[26:27], 1, v[26:27]
	v_addc_co_u32_e64 v25, s[2:3], v21, v25, s[2:3]
	v_add3_u32 v23, v23, v33, v13
	v_add_co_u32_e64 v26, s[2:3], v20, v26
	v_mul_lo_u32 v30, v35, s6
	v_lshlrev_b64 v[22:23], 1, v[22:23]
	v_addc_co_u32_e64 v27, s[2:3], v21, v27, s[2:3]
	v_add3_u32 v29, v29, v36, v30
	v_add_co_u32_e64 v22, s[2:3], v20, v22
	v_lshlrev_b64 v[28:29], 1, v[28:29]
	v_addc_co_u32_e64 v23, s[2:3], v21, v23, s[2:3]
	v_add_co_u32_e64 v28, s[2:3], v20, v28
	v_addc_co_u32_e64 v29, s[2:3], v21, v29, s[2:3]
	global_load_ushort v13, v[24:25], off
	global_load_ushort v30, v[22:23], off
	;; [unrolled: 1-line block ×4, first 2 shown]
	ds_read_b32 v22, v12
	ds_read_u16 v23, v12 offset:6
	ds_read_u16 v24, v12 offset:8
	v_add_u32_e32 v12, 12, v12
	s_waitcnt vmcnt(3) lgkmcnt(2)
	v_fma_mix_f32 v13, v22, v13, v19 op_sel_hi:[1,1,0]
	s_waitcnt vmcnt(2)
	v_fma_mix_f32 v13, v22, v30, v13 op_sel:[1,0,0] op_sel_hi:[1,1,0]
	s_waitcnt vmcnt(1) lgkmcnt(1)
	v_fma_mix_f32 v13, v23, v31, v13 op_sel_hi:[1,1,0]
	s_waitcnt vmcnt(0) lgkmcnt(0)
	v_fma_mix_f32 v19, v24, v32, v13 op_sel_hi:[1,1,0]
	s_cbranch_scc1 .LBB76_16
	s_branch .LBB76_11
.LBB76_17:                              ;   in Loop: Header=BB76_9 Depth=1
	s_or_b64 exec, exec, s[20:21]
.LBB76_18:                              ;   in Loop: Header=BB76_9 Depth=1
	s_or_b64 exec, exec, s[18:19]
	v_cmp_gt_i32_e32 vcc, s22, v8
	s_and_saveexec_b64 s[2:3], vcc
	s_cbranch_execz .LBB76_8
; %bb.19:                               ;   in Loop: Header=BB76_9 Depth=1
	s_mov_b64 s[18:19], -1
	s_and_b64 vcc, exec, s[4:5]
	s_cbranch_vccz .LBB76_25
; %bb.20:                               ;   in Loop: Header=BB76_9 Depth=1
	s_and_b64 vcc, exec, s[8:9]
	s_cbranch_vccz .LBB76_22
; %bb.21:                               ;   in Loop: Header=BB76_9 Depth=1
	v_lshlrev_b64 v[10:11], 2, v[8:9]
	v_add_co_u32_e32 v10, vcc, v17, v10
	v_addc_co_u32_e32 v11, vcc, v18, v11, vcc
	global_load_dword v12, v[10:11], off
	v_mul_f32_e32 v13, s28, v19
	s_mov_b64 s[18:19], 0
	s_waitcnt vmcnt(0)
	v_fmac_f32_e32 v13, s30, v12
	global_store_dword v[10:11], v13, off
.LBB76_22:                              ;   in Loop: Header=BB76_9 Depth=1
	s_andn2_b64 vcc, exec, s[18:19]
	s_cbranch_vccnz .LBB76_24
; %bb.23:                               ;   in Loop: Header=BB76_9 Depth=1
	v_mul_lo_u32 v12, v9, s26
	v_mul_lo_u32 v13, v8, s27
	v_mad_u64_u32 v[10:11], s[18:19], v8, s26, 0
	v_add3_u32 v11, v11, v13, v12
	v_lshlrev_b64 v[10:11], 2, v[10:11]
	v_add_co_u32_e32 v10, vcc, v15, v10
	v_addc_co_u32_e32 v11, vcc, v16, v11, vcc
	global_load_dword v12, v[10:11], off
	v_mul_f32_e32 v13, s28, v19
	s_waitcnt vmcnt(0)
	v_fmac_f32_e32 v13, s30, v12
	global_store_dword v[10:11], v13, off
.LBB76_24:                              ;   in Loop: Header=BB76_9 Depth=1
	s_mov_b64 s[18:19], 0
.LBB76_25:                              ;   in Loop: Header=BB76_9 Depth=1
	s_andn2_b64 vcc, exec, s[18:19]
	s_cbranch_vccnz .LBB76_8
; %bb.26:                               ;   in Loop: Header=BB76_9 Depth=1
	v_mul_f32_e32 v10, s28, v19
	s_mov_b64 s[18:19], -1
	s_and_b64 vcc, exec, s[8:9]
	s_cbranch_vccz .LBB76_28
; %bb.27:                               ;   in Loop: Header=BB76_9 Depth=1
	v_lshlrev_b64 v[12:13], 2, v[8:9]
	v_add_co_u32_e32 v12, vcc, v17, v12
	v_addc_co_u32_e32 v13, vcc, v18, v13, vcc
	global_store_dword v[12:13], v10, off
	s_mov_b64 s[18:19], 0
.LBB76_28:                              ;   in Loop: Header=BB76_9 Depth=1
	s_andn2_b64 vcc, exec, s[18:19]
	s_cbranch_vccnz .LBB76_8
; %bb.29:                               ;   in Loop: Header=BB76_9 Depth=1
	v_mul_lo_u32 v11, v9, s26
	v_mul_lo_u32 v12, v8, s27
	v_mad_u64_u32 v[8:9], s[18:19], v8, s26, 0
	v_add3_u32 v9, v9, v12, v11
	v_lshlrev_b64 v[8:9], 2, v[8:9]
	v_add_co_u32_e32 v8, vcc, v15, v8
	v_addc_co_u32_e32 v9, vcc, v16, v9, vcc
	global_store_dword v[8:9], v10, off
	s_branch .LBB76_8
.LBB76_30:
	s_endpgm
	.section	.rodata,"a",@progbits
	.p2align	6, 0x0
	.amdhsa_kernel _ZN9rocsparseL29bsrmmnt_small_blockdim_kernelILj64ELj64ELj2EliDF16_DF16_ffEEv20rocsparse_direction_T3_S2_llNS_24const_host_device_scalarIT7_EEPKT2_PKS2_PKT4_PKT5_llS5_PT6_ll16rocsparse_order_21rocsparse_index_base_b
		.amdhsa_group_segment_fixed_size 640
		.amdhsa_private_segment_fixed_size 0
		.amdhsa_kernarg_size 392
		.amdhsa_user_sgpr_count 6
		.amdhsa_user_sgpr_private_segment_buffer 1
		.amdhsa_user_sgpr_dispatch_ptr 0
		.amdhsa_user_sgpr_queue_ptr 0
		.amdhsa_user_sgpr_kernarg_segment_ptr 1
		.amdhsa_user_sgpr_dispatch_id 0
		.amdhsa_user_sgpr_flat_scratch_init 0
		.amdhsa_user_sgpr_kernarg_preload_length 0
		.amdhsa_user_sgpr_kernarg_preload_offset 0
		.amdhsa_user_sgpr_private_segment_size 0
		.amdhsa_uses_dynamic_stack 0
		.amdhsa_system_sgpr_private_segment_wavefront_offset 0
		.amdhsa_system_sgpr_workgroup_id_x 1
		.amdhsa_system_sgpr_workgroup_id_y 0
		.amdhsa_system_sgpr_workgroup_id_z 0
		.amdhsa_system_sgpr_workgroup_info 0
		.amdhsa_system_vgpr_workitem_id 0
		.amdhsa_next_free_vgpr 37
		.amdhsa_next_free_sgpr 32
		.amdhsa_accum_offset 40
		.amdhsa_reserve_vcc 1
		.amdhsa_reserve_flat_scratch 0
		.amdhsa_float_round_mode_32 0
		.amdhsa_float_round_mode_16_64 0
		.amdhsa_float_denorm_mode_32 3
		.amdhsa_float_denorm_mode_16_64 3
		.amdhsa_dx10_clamp 1
		.amdhsa_ieee_mode 1
		.amdhsa_fp16_overflow 0
		.amdhsa_tg_split 0
		.amdhsa_exception_fp_ieee_invalid_op 0
		.amdhsa_exception_fp_denorm_src 0
		.amdhsa_exception_fp_ieee_div_zero 0
		.amdhsa_exception_fp_ieee_overflow 0
		.amdhsa_exception_fp_ieee_underflow 0
		.amdhsa_exception_fp_ieee_inexact 0
		.amdhsa_exception_int_div_zero 0
	.end_amdhsa_kernel
	.section	.text._ZN9rocsparseL29bsrmmnt_small_blockdim_kernelILj64ELj64ELj2EliDF16_DF16_ffEEv20rocsparse_direction_T3_S2_llNS_24const_host_device_scalarIT7_EEPKT2_PKS2_PKT4_PKT5_llS5_PT6_ll16rocsparse_order_21rocsparse_index_base_b,"axG",@progbits,_ZN9rocsparseL29bsrmmnt_small_blockdim_kernelILj64ELj64ELj2EliDF16_DF16_ffEEv20rocsparse_direction_T3_S2_llNS_24const_host_device_scalarIT7_EEPKT2_PKS2_PKT4_PKT5_llS5_PT6_ll16rocsparse_order_21rocsparse_index_base_b,comdat
.Lfunc_end76:
	.size	_ZN9rocsparseL29bsrmmnt_small_blockdim_kernelILj64ELj64ELj2EliDF16_DF16_ffEEv20rocsparse_direction_T3_S2_llNS_24const_host_device_scalarIT7_EEPKT2_PKS2_PKT4_PKT5_llS5_PT6_ll16rocsparse_order_21rocsparse_index_base_b, .Lfunc_end76-_ZN9rocsparseL29bsrmmnt_small_blockdim_kernelILj64ELj64ELj2EliDF16_DF16_ffEEv20rocsparse_direction_T3_S2_llNS_24const_host_device_scalarIT7_EEPKT2_PKS2_PKT4_PKT5_llS5_PT6_ll16rocsparse_order_21rocsparse_index_base_b
                                        ; -- End function
	.section	.AMDGPU.csdata,"",@progbits
; Kernel info:
; codeLenInByte = 1432
; NumSgprs: 36
; NumVgprs: 37
; NumAgprs: 0
; TotalNumVgprs: 37
; ScratchSize: 0
; MemoryBound: 0
; FloatMode: 240
; IeeeMode: 1
; LDSByteSize: 640 bytes/workgroup (compile time only)
; SGPRBlocks: 4
; VGPRBlocks: 4
; NumSGPRsForWavesPerEU: 36
; NumVGPRsForWavesPerEU: 37
; AccumOffset: 40
; Occupancy: 8
; WaveLimiterHint : 0
; COMPUTE_PGM_RSRC2:SCRATCH_EN: 0
; COMPUTE_PGM_RSRC2:USER_SGPR: 6
; COMPUTE_PGM_RSRC2:TRAP_HANDLER: 0
; COMPUTE_PGM_RSRC2:TGID_X_EN: 1
; COMPUTE_PGM_RSRC2:TGID_Y_EN: 0
; COMPUTE_PGM_RSRC2:TGID_Z_EN: 0
; COMPUTE_PGM_RSRC2:TIDIG_COMP_CNT: 0
; COMPUTE_PGM_RSRC3_GFX90A:ACCUM_OFFSET: 9
; COMPUTE_PGM_RSRC3_GFX90A:TG_SPLIT: 0
	.section	.text._ZN9rocsparseL29bsrmmnt_small_blockdim_kernelILj64ELj8ELj2EllDF16_DF16_ffEEv20rocsparse_direction_T3_S2_llNS_24const_host_device_scalarIT7_EEPKT2_PKS2_PKT4_PKT5_llS5_PT6_ll16rocsparse_order_21rocsparse_index_base_b,"axG",@progbits,_ZN9rocsparseL29bsrmmnt_small_blockdim_kernelILj64ELj8ELj2EllDF16_DF16_ffEEv20rocsparse_direction_T3_S2_llNS_24const_host_device_scalarIT7_EEPKT2_PKS2_PKT4_PKT5_llS5_PT6_ll16rocsparse_order_21rocsparse_index_base_b,comdat
	.globl	_ZN9rocsparseL29bsrmmnt_small_blockdim_kernelILj64ELj8ELj2EllDF16_DF16_ffEEv20rocsparse_direction_T3_S2_llNS_24const_host_device_scalarIT7_EEPKT2_PKS2_PKT4_PKT5_llS5_PT6_ll16rocsparse_order_21rocsparse_index_base_b ; -- Begin function _ZN9rocsparseL29bsrmmnt_small_blockdim_kernelILj64ELj8ELj2EllDF16_DF16_ffEEv20rocsparse_direction_T3_S2_llNS_24const_host_device_scalarIT7_EEPKT2_PKS2_PKT4_PKT5_llS5_PT6_ll16rocsparse_order_21rocsparse_index_base_b
	.p2align	8
	.type	_ZN9rocsparseL29bsrmmnt_small_blockdim_kernelILj64ELj8ELj2EllDF16_DF16_ffEEv20rocsparse_direction_T3_S2_llNS_24const_host_device_scalarIT7_EEPKT2_PKS2_PKT4_PKT5_llS5_PT6_ll16rocsparse_order_21rocsparse_index_base_b,@function
_ZN9rocsparseL29bsrmmnt_small_blockdim_kernelILj64ELj8ELj2EllDF16_DF16_ffEEv20rocsparse_direction_T3_S2_llNS_24const_host_device_scalarIT7_EEPKT2_PKS2_PKT4_PKT5_llS5_PT6_ll16rocsparse_order_21rocsparse_index_base_b: ; @_ZN9rocsparseL29bsrmmnt_small_blockdim_kernelILj64ELj8ELj2EllDF16_DF16_ffEEv20rocsparse_direction_T3_S2_llNS_24const_host_device_scalarIT7_EEPKT2_PKS2_PKT4_PKT5_llS5_PT6_ll16rocsparse_order_21rocsparse_index_base_b
; %bb.0:
	s_load_dwordx4 s[0:3], s[4:5], 0x80
	s_load_dwordx2 s[24:25], s[4:5], 0x28
	s_load_dwordx2 s[26:27], s[4:5], 0x60
	s_waitcnt lgkmcnt(0)
	s_bitcmp1_b32 s2, 0
	s_cselect_b64 s[8:9], -1, 0
	s_xor_b64 s[2:3], s[8:9], -1
	s_and_b64 vcc, exec, s[8:9]
	s_cbranch_vccnz .LBB77_2
; %bb.1:
	s_load_dword s24, s[24:25], 0x0
.LBB77_2:
	s_andn2_b64 vcc, exec, s[2:3]
	s_cbranch_vccnz .LBB77_4
; %bb.3:
	s_load_dword s26, s[26:27], 0x0
.LBB77_4:
	s_waitcnt lgkmcnt(0)
	v_cmp_eq_f32_e64 s[2:3], s24, 0
	v_cmp_eq_f32_e64 s[8:9], s26, 1.0
	s_and_b64 s[2:3], s[2:3], s[8:9]
	s_and_b64 vcc, exec, s[2:3]
	s_cbranch_vccnz .LBB77_30
; %bb.5:
	s_load_dword s2, s[4:5], 0x9c
	s_load_dwordx4 s[16:19], s[4:5], 0x8
	v_mov_b32_e32 v3, 0
	s_waitcnt lgkmcnt(0)
	s_and_b32 s2, s2, 0xffff
	s_mul_i32 s6, s6, s2
	v_add_u32_e32 v1, s6, v0
	v_lshrrev_b32_e32 v2, 4, v1
	v_cmp_gt_i64_e32 vcc, s[16:17], v[2:3]
	s_and_saveexec_b64 s[2:3], vcc
	s_cbranch_execz .LBB77_30
; %bb.6:
	v_cmp_lt_i64_e64 s[2:3], s[18:19], 1
	s_and_b64 vcc, exec, s[2:3]
	s_cbranch_vccnz .LBB77_30
; %bb.7:
	s_load_dwordx8 s[8:15], s[4:5], 0x30
	v_lshlrev_b32_e32 v2, 3, v2
	v_lshrrev_b32_e32 v12, 3, v1
	s_cmp_lg_u32 s0, 1
	s_cselect_b64 s[16:17], -1, 0
	s_waitcnt lgkmcnt(0)
	global_load_dwordx4 v[8:11], v2, s[8:9]
	s_load_dword s2, s[4:5], 0x0
	s_load_dwordx4 s[20:23], s[4:5], 0x68
	s_load_dwordx2 s[6:7], s[4:5], 0x50
	v_and_b32_e32 v2, 7, v0
	v_lshrrev_b32_e32 v0, 3, v0
	v_lshlrev_b32_e32 v3, 6, v0
	v_mul_u32_u24_e32 v0, 48, v0
	s_waitcnt lgkmcnt(0)
	s_cmp_eq_u32 s2, 0
	v_mad_u64_u32 v[6:7], s[2:3], v12, s22, 0
	v_bfe_u32 v4, v1, 3, 1
	v_mul_u32_u24_e32 v1, 3, v2
	v_or_b32_e32 v17, 0x200, v0
	s_cselect_b64 s[2:3], -1, 0
	v_lshlrev_b32_e32 v13, 2, v12
	v_lshl_add_u32 v18, v1, 1, v17
	v_mov_b32_e32 v0, v7
	v_cndmask_b32_e64 v1, 0, 1, s[2:3]
	v_add_co_u32_e32 v19, vcc, s20, v13
	v_mad_u64_u32 v[12:13], s[28:29], v12, s23, v[0:1]
	v_mov_b32_e32 v5, 0
	v_mov_b32_e32 v14, s21
	;; [unrolled: 1-line block ×3, first 2 shown]
	v_addc_co_u32_e32 v20, vcc, 0, v14, vcc
	v_lshlrev_b64 v[0:1], v1, v[4:5]
	v_lshlrev_b64 v[4:5], 2, v[6:7]
	v_add_co_u32_e32 v21, vcc, s20, v4
	v_addc_co_u32_e32 v22, vcc, v14, v5, vcc
	s_and_b64 s[2:3], s[2:3], exec
	s_mov_b32 s25, 0
	s_mov_b32 s27, s1
	v_cmp_neq_f32_e64 s[4:5], s26, 0
	s_mov_b64 s[8:9], 0
	v_lshl_or_b32 v16, v2, 3, v3
	s_cselect_b32 s33, 1, 2
	s_mov_b32 s34, 0x5040100
	s_waitcnt vmcnt(0)
	v_subrev_co_u32_e32 v4, vcc, s1, v8
	v_subbrev_co_u32_e32 v5, vcc, 0, v9, vcc
	v_subrev_co_u32_e32 v6, vcc, s1, v10
	v_subbrev_co_u32_e32 v7, vcc, 0, v11, vcc
	v_cmp_lt_i64_e64 s[0:1], v[8:9], v[10:11]
	s_branch .LBB77_9
.LBB77_8:                               ;   in Loop: Header=BB77_9 Depth=1
	s_or_b64 exec, exec, s[2:3]
	s_add_u32 s8, s8, 8
	s_addc_u32 s9, s9, 0
	v_pk_mov_b32 v[8:9], s[18:19], s[18:19] op_sel:[0,1]
	v_cmp_lt_i64_e32 vcc, s[8:9], v[8:9]
	s_cbranch_vccz .LBB77_30
.LBB77_9:                               ; =>This Loop Header: Depth=1
                                        ;     Child Loop BB77_12 Depth 2
                                        ;       Child Loop BB77_16 Depth 3
	v_or_b32_e64 v9, s9, 0
	v_or_b32_e32 v8, s8, v2
	v_mov_b32_e32 v23, 0
	s_and_saveexec_b64 s[20:21], s[0:1]
	s_cbranch_execz .LBB77_18
; %bb.10:                               ;   in Loop: Header=BB77_9 Depth=1
	v_lshlrev_b64 v[10:11], 1, v[8:9]
	v_mov_b32_e32 v12, s15
	v_add_co_u32_e64 v24, s[2:3], s14, v10
	v_cmp_gt_i64_e32 vcc, s[18:19], v[8:9]
	v_addc_co_u32_e64 v25, s[2:3], v12, v11, s[2:3]
	s_mov_b64 s[28:29], 0
	v_mov_b32_e32 v23, 0
	v_pk_mov_b32 v[10:11], v[4:5], v[4:5] op_sel:[0,1]
	s_branch .LBB77_12
.LBB77_11:                              ;   in Loop: Header=BB77_12 Depth=2
	s_or_b64 exec, exec, s[30:31]
	v_add_co_u32_e64 v10, s[2:3], 8, v10
	v_addc_co_u32_e64 v11, s[2:3], 0, v11, s[2:3]
	v_cmp_ge_i64_e64 s[2:3], v[10:11], v[6:7]
	s_or_b64 s[28:29], s[2:3], s[28:29]
	s_andn2_b64 exec, exec, s[28:29]
	s_cbranch_execz .LBB77_17
.LBB77_12:                              ;   Parent Loop BB77_9 Depth=1
                                        ; =>  This Loop Header: Depth=2
                                        ;       Child Loop BB77_16 Depth 3
	v_add_co_u32_e64 v12, s[2:3], v10, v2
	v_addc_co_u32_e64 v13, s[2:3], 0, v11, s[2:3]
	v_cmp_lt_i64_e64 s[2:3], v[12:13], v[6:7]
	v_pk_mov_b32 v[14:15], 0, 0
	v_mov_b32_e32 v26, 0
	s_and_saveexec_b64 s[30:31], s[2:3]
	s_cbranch_execz .LBB77_14
; %bb.13:                               ;   in Loop: Header=BB77_12 Depth=2
	v_lshlrev_b64 v[14:15], 3, v[12:13]
	v_lshlrev_b64 v[12:13], 2, v[12:13]
	v_mov_b32_e32 v26, s11
	v_add_co_u32_e64 v14, s[2:3], s10, v14
	v_or_b32_e32 v13, v13, v1
	v_or_b32_e32 v12, v12, v0
	v_addc_co_u32_e64 v15, s[2:3], v26, v15, s[2:3]
	v_lshlrev_b64 v[26:27], 1, v[12:13]
	v_mov_b32_e32 v28, s13
	v_add_co_u32_e64 v26, s[2:3], s12, v26
	v_or_b32_e32 v13, 0, v13
	v_or_b32_e32 v12, s33, v12
	global_load_dwordx2 v[14:15], v[14:15], off
	v_addc_co_u32_e64 v27, s[2:3], v28, v27, s[2:3]
	v_lshlrev_b64 v[12:13], 1, v[12:13]
	v_add_co_u32_e64 v12, s[2:3], s12, v12
	v_addc_co_u32_e64 v13, s[2:3], v28, v13, s[2:3]
	global_load_ushort v28, v[26:27], off
	global_load_ushort v29, v[12:13], off
	v_mov_b32_e32 v13, s25
	s_waitcnt vmcnt(2)
	v_subrev_co_u32_e64 v12, s[2:3], s27, v14
	v_subb_co_u32_e64 v13, s[2:3], v15, v13, s[2:3]
	v_lshlrev_b64 v[14:15], 1, v[12:13]
	s_waitcnt vmcnt(0)
	v_perm_b32 v26, v29, v28, s34
.LBB77_14:                              ;   in Loop: Header=BB77_12 Depth=2
	s_or_b64 exec, exec, s[30:31]
	ds_write_b64 v16, v[14:15]
	ds_write_b32 v18, v26
	s_waitcnt lgkmcnt(0)
	; wave barrier
	s_waitcnt lgkmcnt(0)
	s_and_saveexec_b64 s[30:31], vcc
	s_cbranch_execz .LBB77_11
; %bb.15:                               ;   in Loop: Header=BB77_12 Depth=2
	s_mov_b32 s35, 0
	v_mov_b32_e32 v12, v17
.LBB77_16:                              ;   Parent Loop BB77_9 Depth=1
                                        ;     Parent Loop BB77_12 Depth=2
                                        ; =>    This Inner Loop Header: Depth=3
	v_add_u32_e32 v13, s35, v3
	ds_read_b128 v[26:29], v13
	s_lshl_b64 s[36:37], s[6:7], 1
	v_mov_b32_e32 v13, s37
	s_add_i32 s35, s35, 16
	s_cmp_lg_u32 s35, 64
	s_waitcnt lgkmcnt(0)
	v_mul_lo_u32 v30, v27, s6
	v_mul_lo_u32 v31, v26, s7
	v_mad_u64_u32 v[14:15], s[2:3], v26, s6, 0
	v_add3_u32 v15, v15, v31, v30
	v_mul_lo_u32 v29, v29, s6
	v_mul_lo_u32 v32, v28, s7
	v_mad_u64_u32 v[26:27], s[2:3], v28, s6, 0
	v_lshlrev_b64 v[14:15], 1, v[14:15]
	v_add3_u32 v27, v27, v32, v29
	v_add_co_u32_e64 v14, s[2:3], v24, v14
	v_lshlrev_b64 v[26:27], 1, v[26:27]
	v_addc_co_u32_e64 v15, s[2:3], v25, v15, s[2:3]
	v_add_co_u32_e64 v26, s[2:3], v24, v26
	v_addc_co_u32_e64 v27, s[2:3], v25, v27, s[2:3]
	v_add_co_u32_e64 v28, s[2:3], s36, v14
	;; [unrolled: 2-line block ×3, first 2 shown]
	v_addc_co_u32_e64 v31, s[2:3], v27, v13, s[2:3]
	global_load_ushort v13, v[14:15], off
	global_load_ushort v32, v[28:29], off
	;; [unrolled: 1-line block ×4, first 2 shown]
	ds_read_b32 v14, v12
	ds_read_u16 v15, v12 offset:6
	ds_read_u16 v26, v12 offset:8
	v_add_u32_e32 v12, 12, v12
	s_waitcnt vmcnt(3) lgkmcnt(2)
	v_fma_mix_f32 v13, v14, v13, v23 op_sel_hi:[1,1,0]
	s_waitcnt vmcnt(2)
	v_fma_mix_f32 v13, v14, v32, v13 op_sel:[1,0,0] op_sel_hi:[1,1,0]
	s_waitcnt vmcnt(1) lgkmcnt(1)
	v_fma_mix_f32 v13, v15, v33, v13 op_sel_hi:[1,1,0]
	s_waitcnt vmcnt(0) lgkmcnt(0)
	v_fma_mix_f32 v23, v26, v34, v13 op_sel_hi:[1,1,0]
	s_cbranch_scc1 .LBB77_16
	s_branch .LBB77_11
.LBB77_17:                              ;   in Loop: Header=BB77_9 Depth=1
	s_or_b64 exec, exec, s[28:29]
.LBB77_18:                              ;   in Loop: Header=BB77_9 Depth=1
	s_or_b64 exec, exec, s[20:21]
	v_cmp_gt_i64_e32 vcc, s[18:19], v[8:9]
	s_and_saveexec_b64 s[2:3], vcc
	s_cbranch_execz .LBB77_8
; %bb.19:                               ;   in Loop: Header=BB77_9 Depth=1
	s_mov_b64 s[20:21], -1
	s_and_b64 vcc, exec, s[4:5]
	s_cbranch_vccz .LBB77_25
; %bb.20:                               ;   in Loop: Header=BB77_9 Depth=1
	s_and_b64 vcc, exec, s[16:17]
	s_cbranch_vccz .LBB77_22
; %bb.21:                               ;   in Loop: Header=BB77_9 Depth=1
	v_lshlrev_b64 v[10:11], 2, v[8:9]
	v_add_co_u32_e32 v10, vcc, v21, v10
	v_addc_co_u32_e32 v11, vcc, v22, v11, vcc
	global_load_dword v12, v[10:11], off
	v_mul_f32_e32 v13, s24, v23
	s_mov_b64 s[20:21], 0
	s_waitcnt vmcnt(0)
	v_fmac_f32_e32 v13, s26, v12
	global_store_dword v[10:11], v13, off
.LBB77_22:                              ;   in Loop: Header=BB77_9 Depth=1
	s_andn2_b64 vcc, exec, s[20:21]
	s_cbranch_vccnz .LBB77_24
; %bb.23:                               ;   in Loop: Header=BB77_9 Depth=1
	v_mul_lo_u32 v12, v9, s22
	v_mul_lo_u32 v13, v8, s23
	v_mad_u64_u32 v[10:11], s[20:21], v8, s22, 0
	v_add3_u32 v11, v11, v13, v12
	v_lshlrev_b64 v[10:11], 2, v[10:11]
	v_add_co_u32_e32 v10, vcc, v19, v10
	v_addc_co_u32_e32 v11, vcc, v20, v11, vcc
	global_load_dword v12, v[10:11], off
	v_mul_f32_e32 v13, s24, v23
	s_waitcnt vmcnt(0)
	v_fmac_f32_e32 v13, s26, v12
	global_store_dword v[10:11], v13, off
.LBB77_24:                              ;   in Loop: Header=BB77_9 Depth=1
	s_mov_b64 s[20:21], 0
.LBB77_25:                              ;   in Loop: Header=BB77_9 Depth=1
	s_andn2_b64 vcc, exec, s[20:21]
	s_cbranch_vccnz .LBB77_8
; %bb.26:                               ;   in Loop: Header=BB77_9 Depth=1
	v_mul_f32_e32 v10, s24, v23
	s_mov_b64 s[20:21], -1
	s_and_b64 vcc, exec, s[16:17]
	s_cbranch_vccz .LBB77_28
; %bb.27:                               ;   in Loop: Header=BB77_9 Depth=1
	v_lshlrev_b64 v[12:13], 2, v[8:9]
	v_add_co_u32_e32 v12, vcc, v21, v12
	v_addc_co_u32_e32 v13, vcc, v22, v13, vcc
	global_store_dword v[12:13], v10, off
	s_mov_b64 s[20:21], 0
.LBB77_28:                              ;   in Loop: Header=BB77_9 Depth=1
	s_andn2_b64 vcc, exec, s[20:21]
	s_cbranch_vccnz .LBB77_8
; %bb.29:                               ;   in Loop: Header=BB77_9 Depth=1
	v_mul_lo_u32 v11, v9, s22
	v_mul_lo_u32 v12, v8, s23
	v_mad_u64_u32 v[8:9], s[20:21], v8, s22, 0
	v_add3_u32 v9, v9, v12, v11
	v_lshlrev_b64 v[8:9], 2, v[8:9]
	v_add_co_u32_e32 v8, vcc, v19, v8
	v_addc_co_u32_e32 v9, vcc, v20, v9, vcc
	global_store_dword v[8:9], v10, off
	s_branch .LBB77_8
.LBB77_30:
	s_endpgm
	.section	.rodata,"a",@progbits
	.p2align	6, 0x0
	.amdhsa_kernel _ZN9rocsparseL29bsrmmnt_small_blockdim_kernelILj64ELj8ELj2EllDF16_DF16_ffEEv20rocsparse_direction_T3_S2_llNS_24const_host_device_scalarIT7_EEPKT2_PKS2_PKT4_PKT5_llS5_PT6_ll16rocsparse_order_21rocsparse_index_base_b
		.amdhsa_group_segment_fixed_size 896
		.amdhsa_private_segment_fixed_size 0
		.amdhsa_kernarg_size 400
		.amdhsa_user_sgpr_count 6
		.amdhsa_user_sgpr_private_segment_buffer 1
		.amdhsa_user_sgpr_dispatch_ptr 0
		.amdhsa_user_sgpr_queue_ptr 0
		.amdhsa_user_sgpr_kernarg_segment_ptr 1
		.amdhsa_user_sgpr_dispatch_id 0
		.amdhsa_user_sgpr_flat_scratch_init 0
		.amdhsa_user_sgpr_kernarg_preload_length 0
		.amdhsa_user_sgpr_kernarg_preload_offset 0
		.amdhsa_user_sgpr_private_segment_size 0
		.amdhsa_uses_dynamic_stack 0
		.amdhsa_system_sgpr_private_segment_wavefront_offset 0
		.amdhsa_system_sgpr_workgroup_id_x 1
		.amdhsa_system_sgpr_workgroup_id_y 0
		.amdhsa_system_sgpr_workgroup_id_z 0
		.amdhsa_system_sgpr_workgroup_info 0
		.amdhsa_system_vgpr_workitem_id 0
		.amdhsa_next_free_vgpr 35
		.amdhsa_next_free_sgpr 38
		.amdhsa_accum_offset 36
		.amdhsa_reserve_vcc 1
		.amdhsa_reserve_flat_scratch 0
		.amdhsa_float_round_mode_32 0
		.amdhsa_float_round_mode_16_64 0
		.amdhsa_float_denorm_mode_32 3
		.amdhsa_float_denorm_mode_16_64 3
		.amdhsa_dx10_clamp 1
		.amdhsa_ieee_mode 1
		.amdhsa_fp16_overflow 0
		.amdhsa_tg_split 0
		.amdhsa_exception_fp_ieee_invalid_op 0
		.amdhsa_exception_fp_denorm_src 0
		.amdhsa_exception_fp_ieee_div_zero 0
		.amdhsa_exception_fp_ieee_overflow 0
		.amdhsa_exception_fp_ieee_underflow 0
		.amdhsa_exception_fp_ieee_inexact 0
		.amdhsa_exception_int_div_zero 0
	.end_amdhsa_kernel
	.section	.text._ZN9rocsparseL29bsrmmnt_small_blockdim_kernelILj64ELj8ELj2EllDF16_DF16_ffEEv20rocsparse_direction_T3_S2_llNS_24const_host_device_scalarIT7_EEPKT2_PKS2_PKT4_PKT5_llS5_PT6_ll16rocsparse_order_21rocsparse_index_base_b,"axG",@progbits,_ZN9rocsparseL29bsrmmnt_small_blockdim_kernelILj64ELj8ELj2EllDF16_DF16_ffEEv20rocsparse_direction_T3_S2_llNS_24const_host_device_scalarIT7_EEPKT2_PKS2_PKT4_PKT5_llS5_PT6_ll16rocsparse_order_21rocsparse_index_base_b,comdat
.Lfunc_end77:
	.size	_ZN9rocsparseL29bsrmmnt_small_blockdim_kernelILj64ELj8ELj2EllDF16_DF16_ffEEv20rocsparse_direction_T3_S2_llNS_24const_host_device_scalarIT7_EEPKT2_PKS2_PKT4_PKT5_llS5_PT6_ll16rocsparse_order_21rocsparse_index_base_b, .Lfunc_end77-_ZN9rocsparseL29bsrmmnt_small_blockdim_kernelILj64ELj8ELj2EllDF16_DF16_ffEEv20rocsparse_direction_T3_S2_llNS_24const_host_device_scalarIT7_EEPKT2_PKS2_PKT4_PKT5_llS5_PT6_ll16rocsparse_order_21rocsparse_index_base_b
                                        ; -- End function
	.section	.AMDGPU.csdata,"",@progbits
; Kernel info:
; codeLenInByte = 1440
; NumSgprs: 42
; NumVgprs: 35
; NumAgprs: 0
; TotalNumVgprs: 35
; ScratchSize: 0
; MemoryBound: 0
; FloatMode: 240
; IeeeMode: 1
; LDSByteSize: 896 bytes/workgroup (compile time only)
; SGPRBlocks: 5
; VGPRBlocks: 4
; NumSGPRsForWavesPerEU: 42
; NumVGPRsForWavesPerEU: 35
; AccumOffset: 36
; Occupancy: 8
; WaveLimiterHint : 1
; COMPUTE_PGM_RSRC2:SCRATCH_EN: 0
; COMPUTE_PGM_RSRC2:USER_SGPR: 6
; COMPUTE_PGM_RSRC2:TRAP_HANDLER: 0
; COMPUTE_PGM_RSRC2:TGID_X_EN: 1
; COMPUTE_PGM_RSRC2:TGID_Y_EN: 0
; COMPUTE_PGM_RSRC2:TGID_Z_EN: 0
; COMPUTE_PGM_RSRC2:TIDIG_COMP_CNT: 0
; COMPUTE_PGM_RSRC3_GFX90A:ACCUM_OFFSET: 8
; COMPUTE_PGM_RSRC3_GFX90A:TG_SPLIT: 0
	.section	.text._ZN9rocsparseL29bsrmmnt_small_blockdim_kernelILj64ELj16ELj2EllDF16_DF16_ffEEv20rocsparse_direction_T3_S2_llNS_24const_host_device_scalarIT7_EEPKT2_PKS2_PKT4_PKT5_llS5_PT6_ll16rocsparse_order_21rocsparse_index_base_b,"axG",@progbits,_ZN9rocsparseL29bsrmmnt_small_blockdim_kernelILj64ELj16ELj2EllDF16_DF16_ffEEv20rocsparse_direction_T3_S2_llNS_24const_host_device_scalarIT7_EEPKT2_PKS2_PKT4_PKT5_llS5_PT6_ll16rocsparse_order_21rocsparse_index_base_b,comdat
	.globl	_ZN9rocsparseL29bsrmmnt_small_blockdim_kernelILj64ELj16ELj2EllDF16_DF16_ffEEv20rocsparse_direction_T3_S2_llNS_24const_host_device_scalarIT7_EEPKT2_PKS2_PKT4_PKT5_llS5_PT6_ll16rocsparse_order_21rocsparse_index_base_b ; -- Begin function _ZN9rocsparseL29bsrmmnt_small_blockdim_kernelILj64ELj16ELj2EllDF16_DF16_ffEEv20rocsparse_direction_T3_S2_llNS_24const_host_device_scalarIT7_EEPKT2_PKS2_PKT4_PKT5_llS5_PT6_ll16rocsparse_order_21rocsparse_index_base_b
	.p2align	8
	.type	_ZN9rocsparseL29bsrmmnt_small_blockdim_kernelILj64ELj16ELj2EllDF16_DF16_ffEEv20rocsparse_direction_T3_S2_llNS_24const_host_device_scalarIT7_EEPKT2_PKS2_PKT4_PKT5_llS5_PT6_ll16rocsparse_order_21rocsparse_index_base_b,@function
_ZN9rocsparseL29bsrmmnt_small_blockdim_kernelILj64ELj16ELj2EllDF16_DF16_ffEEv20rocsparse_direction_T3_S2_llNS_24const_host_device_scalarIT7_EEPKT2_PKS2_PKT4_PKT5_llS5_PT6_ll16rocsparse_order_21rocsparse_index_base_b: ; @_ZN9rocsparseL29bsrmmnt_small_blockdim_kernelILj64ELj16ELj2EllDF16_DF16_ffEEv20rocsparse_direction_T3_S2_llNS_24const_host_device_scalarIT7_EEPKT2_PKS2_PKT4_PKT5_llS5_PT6_ll16rocsparse_order_21rocsparse_index_base_b
; %bb.0:
	s_load_dwordx4 s[0:3], s[4:5], 0x80
	s_load_dwordx2 s[24:25], s[4:5], 0x28
	s_load_dwordx2 s[26:27], s[4:5], 0x60
	s_waitcnt lgkmcnt(0)
	s_bitcmp1_b32 s2, 0
	s_cselect_b64 s[8:9], -1, 0
	s_xor_b64 s[2:3], s[8:9], -1
	s_and_b64 vcc, exec, s[8:9]
	s_cbranch_vccnz .LBB78_2
; %bb.1:
	s_load_dword s24, s[24:25], 0x0
.LBB78_2:
	s_andn2_b64 vcc, exec, s[2:3]
	s_cbranch_vccnz .LBB78_4
; %bb.3:
	s_load_dword s26, s[26:27], 0x0
.LBB78_4:
	s_waitcnt lgkmcnt(0)
	v_cmp_eq_f32_e64 s[2:3], s24, 0
	v_cmp_eq_f32_e64 s[8:9], s26, 1.0
	s_and_b64 s[2:3], s[2:3], s[8:9]
	s_and_b64 vcc, exec, s[2:3]
	s_cbranch_vccnz .LBB78_30
; %bb.5:
	s_load_dword s2, s[4:5], 0x9c
	s_load_dwordx4 s[16:19], s[4:5], 0x8
	v_mov_b32_e32 v3, 0
	s_waitcnt lgkmcnt(0)
	s_and_b32 s2, s2, 0xffff
	s_mul_i32 s6, s6, s2
	v_add_u32_e32 v1, s6, v0
	v_lshrrev_b32_e32 v2, 5, v1
	v_cmp_gt_i64_e32 vcc, s[16:17], v[2:3]
	s_and_saveexec_b64 s[2:3], vcc
	s_cbranch_execz .LBB78_30
; %bb.6:
	v_cmp_lt_i64_e64 s[2:3], s[18:19], 1
	s_and_b64 vcc, exec, s[2:3]
	s_cbranch_vccnz .LBB78_30
; %bb.7:
	s_load_dwordx8 s[8:15], s[4:5], 0x30
	v_lshlrev_b32_e32 v2, 3, v2
	v_lshrrev_b32_e32 v12, 4, v1
	s_cmp_lg_u32 s0, 1
	s_cselect_b64 s[16:17], -1, 0
	s_waitcnt lgkmcnt(0)
	global_load_dwordx4 v[8:11], v2, s[8:9]
	s_load_dword s2, s[4:5], 0x0
	s_load_dwordx4 s[20:23], s[4:5], 0x68
	s_load_dwordx2 s[6:7], s[4:5], 0x50
	v_and_b32_e32 v2, 15, v0
	v_lshrrev_b32_e32 v0, 4, v0
	v_lshlrev_b32_e32 v3, 7, v0
	v_mul_u32_u24_e32 v0, 0x60, v0
	s_waitcnt lgkmcnt(0)
	s_cmp_eq_u32 s2, 0
	v_mad_u64_u32 v[6:7], s[2:3], v12, s22, 0
	v_bfe_u32 v4, v1, 4, 1
	v_mul_u32_u24_e32 v1, 3, v2
	v_or_b32_e32 v17, 0x200, v0
	s_cselect_b64 s[2:3], -1, 0
	v_lshlrev_b32_e32 v13, 2, v12
	v_lshl_add_u32 v18, v1, 1, v17
	v_mov_b32_e32 v0, v7
	v_cndmask_b32_e64 v1, 0, 1, s[2:3]
	v_add_co_u32_e32 v19, vcc, s20, v13
	v_mad_u64_u32 v[12:13], s[28:29], v12, s23, v[0:1]
	v_mov_b32_e32 v5, 0
	v_mov_b32_e32 v14, s21
	;; [unrolled: 1-line block ×3, first 2 shown]
	v_addc_co_u32_e32 v20, vcc, 0, v14, vcc
	v_lshlrev_b64 v[0:1], v1, v[4:5]
	v_lshlrev_b64 v[4:5], 2, v[6:7]
	v_add_co_u32_e32 v21, vcc, s20, v4
	v_addc_co_u32_e32 v22, vcc, v14, v5, vcc
	s_and_b64 s[2:3], s[2:3], exec
	s_mov_b32 s25, 0
	s_mov_b32 s27, s1
	v_cmp_neq_f32_e64 s[4:5], s26, 0
	s_mov_b64 s[8:9], 0
	v_lshl_or_b32 v16, v2, 3, v3
	s_cselect_b32 s33, 1, 2
	s_mov_b32 s34, 0x5040100
	s_waitcnt vmcnt(0)
	v_subrev_co_u32_e32 v4, vcc, s1, v8
	v_subbrev_co_u32_e32 v5, vcc, 0, v9, vcc
	v_subrev_co_u32_e32 v6, vcc, s1, v10
	v_subbrev_co_u32_e32 v7, vcc, 0, v11, vcc
	v_cmp_lt_i64_e64 s[0:1], v[8:9], v[10:11]
	s_branch .LBB78_9
.LBB78_8:                               ;   in Loop: Header=BB78_9 Depth=1
	s_or_b64 exec, exec, s[2:3]
	s_add_u32 s8, s8, 16
	s_addc_u32 s9, s9, 0
	v_pk_mov_b32 v[8:9], s[18:19], s[18:19] op_sel:[0,1]
	v_cmp_lt_i64_e32 vcc, s[8:9], v[8:9]
	s_cbranch_vccz .LBB78_30
.LBB78_9:                               ; =>This Loop Header: Depth=1
                                        ;     Child Loop BB78_12 Depth 2
                                        ;       Child Loop BB78_16 Depth 3
	v_or_b32_e64 v9, s9, 0
	v_or_b32_e32 v8, s8, v2
	v_mov_b32_e32 v23, 0
	s_and_saveexec_b64 s[20:21], s[0:1]
	s_cbranch_execz .LBB78_18
; %bb.10:                               ;   in Loop: Header=BB78_9 Depth=1
	v_lshlrev_b64 v[10:11], 1, v[8:9]
	v_mov_b32_e32 v12, s15
	v_add_co_u32_e64 v24, s[2:3], s14, v10
	v_cmp_gt_i64_e32 vcc, s[18:19], v[8:9]
	v_addc_co_u32_e64 v25, s[2:3], v12, v11, s[2:3]
	s_mov_b64 s[28:29], 0
	v_mov_b32_e32 v23, 0
	v_pk_mov_b32 v[10:11], v[4:5], v[4:5] op_sel:[0,1]
	s_branch .LBB78_12
.LBB78_11:                              ;   in Loop: Header=BB78_12 Depth=2
	s_or_b64 exec, exec, s[30:31]
	v_add_co_u32_e64 v10, s[2:3], 16, v10
	v_addc_co_u32_e64 v11, s[2:3], 0, v11, s[2:3]
	v_cmp_ge_i64_e64 s[2:3], v[10:11], v[6:7]
	s_or_b64 s[28:29], s[2:3], s[28:29]
	s_andn2_b64 exec, exec, s[28:29]
	s_cbranch_execz .LBB78_17
.LBB78_12:                              ;   Parent Loop BB78_9 Depth=1
                                        ; =>  This Loop Header: Depth=2
                                        ;       Child Loop BB78_16 Depth 3
	v_add_co_u32_e64 v12, s[2:3], v10, v2
	v_addc_co_u32_e64 v13, s[2:3], 0, v11, s[2:3]
	v_cmp_lt_i64_e64 s[2:3], v[12:13], v[6:7]
	v_pk_mov_b32 v[14:15], 0, 0
	v_mov_b32_e32 v26, 0
	s_and_saveexec_b64 s[30:31], s[2:3]
	s_cbranch_execz .LBB78_14
; %bb.13:                               ;   in Loop: Header=BB78_12 Depth=2
	v_lshlrev_b64 v[14:15], 3, v[12:13]
	v_lshlrev_b64 v[12:13], 2, v[12:13]
	v_mov_b32_e32 v26, s11
	v_add_co_u32_e64 v14, s[2:3], s10, v14
	v_or_b32_e32 v13, v13, v1
	v_or_b32_e32 v12, v12, v0
	v_addc_co_u32_e64 v15, s[2:3], v26, v15, s[2:3]
	v_lshlrev_b64 v[26:27], 1, v[12:13]
	v_mov_b32_e32 v28, s13
	v_add_co_u32_e64 v26, s[2:3], s12, v26
	v_or_b32_e32 v13, 0, v13
	v_or_b32_e32 v12, s33, v12
	global_load_dwordx2 v[14:15], v[14:15], off
	v_addc_co_u32_e64 v27, s[2:3], v28, v27, s[2:3]
	v_lshlrev_b64 v[12:13], 1, v[12:13]
	v_add_co_u32_e64 v12, s[2:3], s12, v12
	v_addc_co_u32_e64 v13, s[2:3], v28, v13, s[2:3]
	global_load_ushort v28, v[26:27], off
	global_load_ushort v29, v[12:13], off
	v_mov_b32_e32 v13, s25
	s_waitcnt vmcnt(2)
	v_subrev_co_u32_e64 v12, s[2:3], s27, v14
	v_subb_co_u32_e64 v13, s[2:3], v15, v13, s[2:3]
	v_lshlrev_b64 v[14:15], 1, v[12:13]
	s_waitcnt vmcnt(0)
	v_perm_b32 v26, v29, v28, s34
.LBB78_14:                              ;   in Loop: Header=BB78_12 Depth=2
	s_or_b64 exec, exec, s[30:31]
	ds_write_b64 v16, v[14:15]
	ds_write_b32 v18, v26
	s_waitcnt lgkmcnt(0)
	; wave barrier
	s_waitcnt lgkmcnt(0)
	s_and_saveexec_b64 s[30:31], vcc
	s_cbranch_execz .LBB78_11
; %bb.15:                               ;   in Loop: Header=BB78_12 Depth=2
	s_mov_b32 s35, 0
	v_mov_b32_e32 v12, v17
.LBB78_16:                              ;   Parent Loop BB78_9 Depth=1
                                        ;     Parent Loop BB78_12 Depth=2
                                        ; =>    This Inner Loop Header: Depth=3
	v_add_u32_e32 v13, s35, v3
	ds_read_b128 v[26:29], v13
	s_lshl_b64 s[36:37], s[6:7], 1
	v_mov_b32_e32 v13, s37
	s_add_i32 s35, s35, 16
	s_cmpk_lg_i32 s35, 0x80
	s_waitcnt lgkmcnt(0)
	v_mul_lo_u32 v30, v27, s6
	v_mul_lo_u32 v31, v26, s7
	v_mad_u64_u32 v[14:15], s[2:3], v26, s6, 0
	v_add3_u32 v15, v15, v31, v30
	v_mul_lo_u32 v29, v29, s6
	v_mul_lo_u32 v32, v28, s7
	v_mad_u64_u32 v[26:27], s[2:3], v28, s6, 0
	v_lshlrev_b64 v[14:15], 1, v[14:15]
	v_add3_u32 v27, v27, v32, v29
	v_add_co_u32_e64 v14, s[2:3], v24, v14
	v_lshlrev_b64 v[26:27], 1, v[26:27]
	v_addc_co_u32_e64 v15, s[2:3], v25, v15, s[2:3]
	v_add_co_u32_e64 v26, s[2:3], v24, v26
	v_addc_co_u32_e64 v27, s[2:3], v25, v27, s[2:3]
	v_add_co_u32_e64 v28, s[2:3], s36, v14
	;; [unrolled: 2-line block ×3, first 2 shown]
	v_addc_co_u32_e64 v31, s[2:3], v27, v13, s[2:3]
	global_load_ushort v13, v[14:15], off
	global_load_ushort v32, v[28:29], off
	global_load_ushort v33, v[26:27], off
	global_load_ushort v34, v[30:31], off
	ds_read_b32 v14, v12
	ds_read_u16 v15, v12 offset:6
	ds_read_u16 v26, v12 offset:8
	v_add_u32_e32 v12, 12, v12
	s_waitcnt vmcnt(3) lgkmcnt(2)
	v_fma_mix_f32 v13, v14, v13, v23 op_sel_hi:[1,1,0]
	s_waitcnt vmcnt(2)
	v_fma_mix_f32 v13, v14, v32, v13 op_sel:[1,0,0] op_sel_hi:[1,1,0]
	s_waitcnt vmcnt(1) lgkmcnt(1)
	v_fma_mix_f32 v13, v15, v33, v13 op_sel_hi:[1,1,0]
	s_waitcnt vmcnt(0) lgkmcnt(0)
	v_fma_mix_f32 v23, v26, v34, v13 op_sel_hi:[1,1,0]
	s_cbranch_scc1 .LBB78_16
	s_branch .LBB78_11
.LBB78_17:                              ;   in Loop: Header=BB78_9 Depth=1
	s_or_b64 exec, exec, s[28:29]
.LBB78_18:                              ;   in Loop: Header=BB78_9 Depth=1
	s_or_b64 exec, exec, s[20:21]
	v_cmp_gt_i64_e32 vcc, s[18:19], v[8:9]
	s_and_saveexec_b64 s[2:3], vcc
	s_cbranch_execz .LBB78_8
; %bb.19:                               ;   in Loop: Header=BB78_9 Depth=1
	s_mov_b64 s[20:21], -1
	s_and_b64 vcc, exec, s[4:5]
	s_cbranch_vccz .LBB78_25
; %bb.20:                               ;   in Loop: Header=BB78_9 Depth=1
	s_and_b64 vcc, exec, s[16:17]
	s_cbranch_vccz .LBB78_22
; %bb.21:                               ;   in Loop: Header=BB78_9 Depth=1
	v_lshlrev_b64 v[10:11], 2, v[8:9]
	v_add_co_u32_e32 v10, vcc, v21, v10
	v_addc_co_u32_e32 v11, vcc, v22, v11, vcc
	global_load_dword v12, v[10:11], off
	v_mul_f32_e32 v13, s24, v23
	s_mov_b64 s[20:21], 0
	s_waitcnt vmcnt(0)
	v_fmac_f32_e32 v13, s26, v12
	global_store_dword v[10:11], v13, off
.LBB78_22:                              ;   in Loop: Header=BB78_9 Depth=1
	s_andn2_b64 vcc, exec, s[20:21]
	s_cbranch_vccnz .LBB78_24
; %bb.23:                               ;   in Loop: Header=BB78_9 Depth=1
	v_mul_lo_u32 v12, v9, s22
	v_mul_lo_u32 v13, v8, s23
	v_mad_u64_u32 v[10:11], s[20:21], v8, s22, 0
	v_add3_u32 v11, v11, v13, v12
	v_lshlrev_b64 v[10:11], 2, v[10:11]
	v_add_co_u32_e32 v10, vcc, v19, v10
	v_addc_co_u32_e32 v11, vcc, v20, v11, vcc
	global_load_dword v12, v[10:11], off
	v_mul_f32_e32 v13, s24, v23
	s_waitcnt vmcnt(0)
	v_fmac_f32_e32 v13, s26, v12
	global_store_dword v[10:11], v13, off
.LBB78_24:                              ;   in Loop: Header=BB78_9 Depth=1
	s_mov_b64 s[20:21], 0
.LBB78_25:                              ;   in Loop: Header=BB78_9 Depth=1
	s_andn2_b64 vcc, exec, s[20:21]
	s_cbranch_vccnz .LBB78_8
; %bb.26:                               ;   in Loop: Header=BB78_9 Depth=1
	v_mul_f32_e32 v10, s24, v23
	s_mov_b64 s[20:21], -1
	s_and_b64 vcc, exec, s[16:17]
	s_cbranch_vccz .LBB78_28
; %bb.27:                               ;   in Loop: Header=BB78_9 Depth=1
	v_lshlrev_b64 v[12:13], 2, v[8:9]
	v_add_co_u32_e32 v12, vcc, v21, v12
	v_addc_co_u32_e32 v13, vcc, v22, v13, vcc
	global_store_dword v[12:13], v10, off
	s_mov_b64 s[20:21], 0
.LBB78_28:                              ;   in Loop: Header=BB78_9 Depth=1
	s_andn2_b64 vcc, exec, s[20:21]
	s_cbranch_vccnz .LBB78_8
; %bb.29:                               ;   in Loop: Header=BB78_9 Depth=1
	v_mul_lo_u32 v11, v9, s22
	v_mul_lo_u32 v12, v8, s23
	v_mad_u64_u32 v[8:9], s[20:21], v8, s22, 0
	v_add3_u32 v9, v9, v12, v11
	v_lshlrev_b64 v[8:9], 2, v[8:9]
	v_add_co_u32_e32 v8, vcc, v19, v8
	v_addc_co_u32_e32 v9, vcc, v20, v9, vcc
	global_store_dword v[8:9], v10, off
	s_branch .LBB78_8
.LBB78_30:
	s_endpgm
	.section	.rodata,"a",@progbits
	.p2align	6, 0x0
	.amdhsa_kernel _ZN9rocsparseL29bsrmmnt_small_blockdim_kernelILj64ELj16ELj2EllDF16_DF16_ffEEv20rocsparse_direction_T3_S2_llNS_24const_host_device_scalarIT7_EEPKT2_PKS2_PKT4_PKT5_llS5_PT6_ll16rocsparse_order_21rocsparse_index_base_b
		.amdhsa_group_segment_fixed_size 896
		.amdhsa_private_segment_fixed_size 0
		.amdhsa_kernarg_size 400
		.amdhsa_user_sgpr_count 6
		.amdhsa_user_sgpr_private_segment_buffer 1
		.amdhsa_user_sgpr_dispatch_ptr 0
		.amdhsa_user_sgpr_queue_ptr 0
		.amdhsa_user_sgpr_kernarg_segment_ptr 1
		.amdhsa_user_sgpr_dispatch_id 0
		.amdhsa_user_sgpr_flat_scratch_init 0
		.amdhsa_user_sgpr_kernarg_preload_length 0
		.amdhsa_user_sgpr_kernarg_preload_offset 0
		.amdhsa_user_sgpr_private_segment_size 0
		.amdhsa_uses_dynamic_stack 0
		.amdhsa_system_sgpr_private_segment_wavefront_offset 0
		.amdhsa_system_sgpr_workgroup_id_x 1
		.amdhsa_system_sgpr_workgroup_id_y 0
		.amdhsa_system_sgpr_workgroup_id_z 0
		.amdhsa_system_sgpr_workgroup_info 0
		.amdhsa_system_vgpr_workitem_id 0
		.amdhsa_next_free_vgpr 35
		.amdhsa_next_free_sgpr 38
		.amdhsa_accum_offset 36
		.amdhsa_reserve_vcc 1
		.amdhsa_reserve_flat_scratch 0
		.amdhsa_float_round_mode_32 0
		.amdhsa_float_round_mode_16_64 0
		.amdhsa_float_denorm_mode_32 3
		.amdhsa_float_denorm_mode_16_64 3
		.amdhsa_dx10_clamp 1
		.amdhsa_ieee_mode 1
		.amdhsa_fp16_overflow 0
		.amdhsa_tg_split 0
		.amdhsa_exception_fp_ieee_invalid_op 0
		.amdhsa_exception_fp_denorm_src 0
		.amdhsa_exception_fp_ieee_div_zero 0
		.amdhsa_exception_fp_ieee_overflow 0
		.amdhsa_exception_fp_ieee_underflow 0
		.amdhsa_exception_fp_ieee_inexact 0
		.amdhsa_exception_int_div_zero 0
	.end_amdhsa_kernel
	.section	.text._ZN9rocsparseL29bsrmmnt_small_blockdim_kernelILj64ELj16ELj2EllDF16_DF16_ffEEv20rocsparse_direction_T3_S2_llNS_24const_host_device_scalarIT7_EEPKT2_PKS2_PKT4_PKT5_llS5_PT6_ll16rocsparse_order_21rocsparse_index_base_b,"axG",@progbits,_ZN9rocsparseL29bsrmmnt_small_blockdim_kernelILj64ELj16ELj2EllDF16_DF16_ffEEv20rocsparse_direction_T3_S2_llNS_24const_host_device_scalarIT7_EEPKT2_PKS2_PKT4_PKT5_llS5_PT6_ll16rocsparse_order_21rocsparse_index_base_b,comdat
.Lfunc_end78:
	.size	_ZN9rocsparseL29bsrmmnt_small_blockdim_kernelILj64ELj16ELj2EllDF16_DF16_ffEEv20rocsparse_direction_T3_S2_llNS_24const_host_device_scalarIT7_EEPKT2_PKS2_PKT4_PKT5_llS5_PT6_ll16rocsparse_order_21rocsparse_index_base_b, .Lfunc_end78-_ZN9rocsparseL29bsrmmnt_small_blockdim_kernelILj64ELj16ELj2EllDF16_DF16_ffEEv20rocsparse_direction_T3_S2_llNS_24const_host_device_scalarIT7_EEPKT2_PKS2_PKT4_PKT5_llS5_PT6_ll16rocsparse_order_21rocsparse_index_base_b
                                        ; -- End function
	.section	.AMDGPU.csdata,"",@progbits
; Kernel info:
; codeLenInByte = 1444
; NumSgprs: 42
; NumVgprs: 35
; NumAgprs: 0
; TotalNumVgprs: 35
; ScratchSize: 0
; MemoryBound: 0
; FloatMode: 240
; IeeeMode: 1
; LDSByteSize: 896 bytes/workgroup (compile time only)
; SGPRBlocks: 5
; VGPRBlocks: 4
; NumSGPRsForWavesPerEU: 42
; NumVGPRsForWavesPerEU: 35
; AccumOffset: 36
; Occupancy: 8
; WaveLimiterHint : 1
; COMPUTE_PGM_RSRC2:SCRATCH_EN: 0
; COMPUTE_PGM_RSRC2:USER_SGPR: 6
; COMPUTE_PGM_RSRC2:TRAP_HANDLER: 0
; COMPUTE_PGM_RSRC2:TGID_X_EN: 1
; COMPUTE_PGM_RSRC2:TGID_Y_EN: 0
; COMPUTE_PGM_RSRC2:TGID_Z_EN: 0
; COMPUTE_PGM_RSRC2:TIDIG_COMP_CNT: 0
; COMPUTE_PGM_RSRC3_GFX90A:ACCUM_OFFSET: 8
; COMPUTE_PGM_RSRC3_GFX90A:TG_SPLIT: 0
	.section	.text._ZN9rocsparseL29bsrmmnt_small_blockdim_kernelILj64ELj32ELj2EllDF16_DF16_ffEEv20rocsparse_direction_T3_S2_llNS_24const_host_device_scalarIT7_EEPKT2_PKS2_PKT4_PKT5_llS5_PT6_ll16rocsparse_order_21rocsparse_index_base_b,"axG",@progbits,_ZN9rocsparseL29bsrmmnt_small_blockdim_kernelILj64ELj32ELj2EllDF16_DF16_ffEEv20rocsparse_direction_T3_S2_llNS_24const_host_device_scalarIT7_EEPKT2_PKS2_PKT4_PKT5_llS5_PT6_ll16rocsparse_order_21rocsparse_index_base_b,comdat
	.globl	_ZN9rocsparseL29bsrmmnt_small_blockdim_kernelILj64ELj32ELj2EllDF16_DF16_ffEEv20rocsparse_direction_T3_S2_llNS_24const_host_device_scalarIT7_EEPKT2_PKS2_PKT4_PKT5_llS5_PT6_ll16rocsparse_order_21rocsparse_index_base_b ; -- Begin function _ZN9rocsparseL29bsrmmnt_small_blockdim_kernelILj64ELj32ELj2EllDF16_DF16_ffEEv20rocsparse_direction_T3_S2_llNS_24const_host_device_scalarIT7_EEPKT2_PKS2_PKT4_PKT5_llS5_PT6_ll16rocsparse_order_21rocsparse_index_base_b
	.p2align	8
	.type	_ZN9rocsparseL29bsrmmnt_small_blockdim_kernelILj64ELj32ELj2EllDF16_DF16_ffEEv20rocsparse_direction_T3_S2_llNS_24const_host_device_scalarIT7_EEPKT2_PKS2_PKT4_PKT5_llS5_PT6_ll16rocsparse_order_21rocsparse_index_base_b,@function
_ZN9rocsparseL29bsrmmnt_small_blockdim_kernelILj64ELj32ELj2EllDF16_DF16_ffEEv20rocsparse_direction_T3_S2_llNS_24const_host_device_scalarIT7_EEPKT2_PKS2_PKT4_PKT5_llS5_PT6_ll16rocsparse_order_21rocsparse_index_base_b: ; @_ZN9rocsparseL29bsrmmnt_small_blockdim_kernelILj64ELj32ELj2EllDF16_DF16_ffEEv20rocsparse_direction_T3_S2_llNS_24const_host_device_scalarIT7_EEPKT2_PKS2_PKT4_PKT5_llS5_PT6_ll16rocsparse_order_21rocsparse_index_base_b
; %bb.0:
	s_load_dwordx4 s[0:3], s[4:5], 0x80
	s_load_dwordx2 s[24:25], s[4:5], 0x28
	s_load_dwordx2 s[26:27], s[4:5], 0x60
	s_waitcnt lgkmcnt(0)
	s_bitcmp1_b32 s2, 0
	s_cselect_b64 s[8:9], -1, 0
	s_xor_b64 s[2:3], s[8:9], -1
	s_and_b64 vcc, exec, s[8:9]
	s_cbranch_vccnz .LBB79_2
; %bb.1:
	s_load_dword s24, s[24:25], 0x0
.LBB79_2:
	s_andn2_b64 vcc, exec, s[2:3]
	s_cbranch_vccnz .LBB79_4
; %bb.3:
	s_load_dword s26, s[26:27], 0x0
.LBB79_4:
	s_waitcnt lgkmcnt(0)
	v_cmp_eq_f32_e64 s[2:3], s24, 0
	v_cmp_eq_f32_e64 s[8:9], s26, 1.0
	s_and_b64 s[2:3], s[2:3], s[8:9]
	s_and_b64 vcc, exec, s[2:3]
	s_cbranch_vccnz .LBB79_30
; %bb.5:
	s_load_dword s2, s[4:5], 0x9c
	s_load_dwordx4 s[16:19], s[4:5], 0x8
	v_mov_b32_e32 v3, 0
	s_waitcnt lgkmcnt(0)
	s_and_b32 s2, s2, 0xffff
	s_mul_i32 s6, s6, s2
	v_add_u32_e32 v1, s6, v0
	v_lshrrev_b32_e32 v2, 6, v1
	v_cmp_gt_i64_e32 vcc, s[16:17], v[2:3]
	s_and_saveexec_b64 s[2:3], vcc
	s_cbranch_execz .LBB79_30
; %bb.6:
	v_cmp_lt_i64_e64 s[2:3], s[18:19], 1
	s_and_b64 vcc, exec, s[2:3]
	s_cbranch_vccnz .LBB79_30
; %bb.7:
	s_load_dwordx8 s[8:15], s[4:5], 0x30
	v_lshlrev_b32_e32 v2, 3, v2
	v_lshrrev_b32_e32 v12, 5, v1
	s_cmp_lg_u32 s0, 1
	s_cselect_b64 s[16:17], -1, 0
	s_waitcnt lgkmcnt(0)
	global_load_dwordx4 v[8:11], v2, s[8:9]
	s_load_dword s2, s[4:5], 0x0
	s_load_dwordx4 s[20:23], s[4:5], 0x68
	s_load_dwordx2 s[6:7], s[4:5], 0x50
	v_and_b32_e32 v2, 31, v0
	v_lshrrev_b32_e32 v0, 5, v0
	v_lshlrev_b32_e32 v3, 8, v0
	v_mul_u32_u24_e32 v0, 0xc0, v0
	s_waitcnt lgkmcnt(0)
	s_cmp_eq_u32 s2, 0
	v_mad_u64_u32 v[6:7], s[2:3], v12, s22, 0
	v_bfe_u32 v4, v1, 5, 1
	v_mul_u32_u24_e32 v1, 3, v2
	v_or_b32_e32 v17, 0x200, v0
	s_cselect_b64 s[2:3], -1, 0
	v_lshlrev_b32_e32 v13, 2, v12
	v_lshl_add_u32 v18, v1, 1, v17
	v_mov_b32_e32 v0, v7
	v_cndmask_b32_e64 v1, 0, 1, s[2:3]
	v_add_co_u32_e32 v19, vcc, s20, v13
	v_mad_u64_u32 v[12:13], s[28:29], v12, s23, v[0:1]
	v_mov_b32_e32 v5, 0
	v_mov_b32_e32 v14, s21
	;; [unrolled: 1-line block ×3, first 2 shown]
	v_addc_co_u32_e32 v20, vcc, 0, v14, vcc
	v_lshlrev_b64 v[0:1], v1, v[4:5]
	v_lshlrev_b64 v[4:5], 2, v[6:7]
	v_add_co_u32_e32 v21, vcc, s20, v4
	v_addc_co_u32_e32 v22, vcc, v14, v5, vcc
	s_and_b64 s[2:3], s[2:3], exec
	s_mov_b32 s25, 0
	s_mov_b32 s27, s1
	v_cmp_neq_f32_e64 s[4:5], s26, 0
	s_mov_b64 s[8:9], 0
	v_lshl_or_b32 v16, v2, 3, v3
	s_cselect_b32 s33, 1, 2
	s_mov_b32 s34, 0x5040100
	s_waitcnt vmcnt(0)
	v_subrev_co_u32_e32 v4, vcc, s1, v8
	v_subbrev_co_u32_e32 v5, vcc, 0, v9, vcc
	v_subrev_co_u32_e32 v6, vcc, s1, v10
	v_subbrev_co_u32_e32 v7, vcc, 0, v11, vcc
	v_cmp_lt_i64_e64 s[0:1], v[8:9], v[10:11]
	s_branch .LBB79_9
.LBB79_8:                               ;   in Loop: Header=BB79_9 Depth=1
	s_or_b64 exec, exec, s[2:3]
	s_add_u32 s8, s8, 32
	s_addc_u32 s9, s9, 0
	v_pk_mov_b32 v[8:9], s[18:19], s[18:19] op_sel:[0,1]
	v_cmp_lt_i64_e32 vcc, s[8:9], v[8:9]
	s_cbranch_vccz .LBB79_30
.LBB79_9:                               ; =>This Loop Header: Depth=1
                                        ;     Child Loop BB79_12 Depth 2
                                        ;       Child Loop BB79_16 Depth 3
	v_or_b32_e64 v9, s9, 0
	v_or_b32_e32 v8, s8, v2
	v_mov_b32_e32 v23, 0
	s_and_saveexec_b64 s[20:21], s[0:1]
	s_cbranch_execz .LBB79_18
; %bb.10:                               ;   in Loop: Header=BB79_9 Depth=1
	v_lshlrev_b64 v[10:11], 1, v[8:9]
	v_mov_b32_e32 v12, s15
	v_add_co_u32_e64 v24, s[2:3], s14, v10
	v_cmp_gt_i64_e32 vcc, s[18:19], v[8:9]
	v_addc_co_u32_e64 v25, s[2:3], v12, v11, s[2:3]
	s_mov_b64 s[28:29], 0
	v_mov_b32_e32 v23, 0
	v_pk_mov_b32 v[10:11], v[4:5], v[4:5] op_sel:[0,1]
	s_branch .LBB79_12
.LBB79_11:                              ;   in Loop: Header=BB79_12 Depth=2
	s_or_b64 exec, exec, s[30:31]
	v_add_co_u32_e64 v10, s[2:3], 32, v10
	v_addc_co_u32_e64 v11, s[2:3], 0, v11, s[2:3]
	v_cmp_ge_i64_e64 s[2:3], v[10:11], v[6:7]
	s_or_b64 s[28:29], s[2:3], s[28:29]
	s_andn2_b64 exec, exec, s[28:29]
	s_cbranch_execz .LBB79_17
.LBB79_12:                              ;   Parent Loop BB79_9 Depth=1
                                        ; =>  This Loop Header: Depth=2
                                        ;       Child Loop BB79_16 Depth 3
	v_add_co_u32_e64 v12, s[2:3], v10, v2
	v_addc_co_u32_e64 v13, s[2:3], 0, v11, s[2:3]
	v_cmp_lt_i64_e64 s[2:3], v[12:13], v[6:7]
	v_pk_mov_b32 v[14:15], 0, 0
	v_mov_b32_e32 v26, 0
	s_and_saveexec_b64 s[30:31], s[2:3]
	s_cbranch_execz .LBB79_14
; %bb.13:                               ;   in Loop: Header=BB79_12 Depth=2
	v_lshlrev_b64 v[14:15], 3, v[12:13]
	v_lshlrev_b64 v[12:13], 2, v[12:13]
	v_mov_b32_e32 v26, s11
	v_add_co_u32_e64 v14, s[2:3], s10, v14
	v_or_b32_e32 v13, v13, v1
	v_or_b32_e32 v12, v12, v0
	v_addc_co_u32_e64 v15, s[2:3], v26, v15, s[2:3]
	v_lshlrev_b64 v[26:27], 1, v[12:13]
	v_mov_b32_e32 v28, s13
	v_add_co_u32_e64 v26, s[2:3], s12, v26
	v_or_b32_e32 v13, 0, v13
	v_or_b32_e32 v12, s33, v12
	global_load_dwordx2 v[14:15], v[14:15], off
	v_addc_co_u32_e64 v27, s[2:3], v28, v27, s[2:3]
	v_lshlrev_b64 v[12:13], 1, v[12:13]
	v_add_co_u32_e64 v12, s[2:3], s12, v12
	v_addc_co_u32_e64 v13, s[2:3], v28, v13, s[2:3]
	global_load_ushort v28, v[26:27], off
	global_load_ushort v29, v[12:13], off
	v_mov_b32_e32 v13, s25
	s_waitcnt vmcnt(2)
	v_subrev_co_u32_e64 v12, s[2:3], s27, v14
	v_subb_co_u32_e64 v13, s[2:3], v15, v13, s[2:3]
	v_lshlrev_b64 v[14:15], 1, v[12:13]
	s_waitcnt vmcnt(0)
	v_perm_b32 v26, v29, v28, s34
.LBB79_14:                              ;   in Loop: Header=BB79_12 Depth=2
	s_or_b64 exec, exec, s[30:31]
	ds_write_b64 v16, v[14:15]
	ds_write_b32 v18, v26
	s_waitcnt lgkmcnt(0)
	; wave barrier
	s_waitcnt lgkmcnt(0)
	s_and_saveexec_b64 s[30:31], vcc
	s_cbranch_execz .LBB79_11
; %bb.15:                               ;   in Loop: Header=BB79_12 Depth=2
	s_mov_b32 s35, 0
	v_mov_b32_e32 v12, v17
.LBB79_16:                              ;   Parent Loop BB79_9 Depth=1
                                        ;     Parent Loop BB79_12 Depth=2
                                        ; =>    This Inner Loop Header: Depth=3
	v_add_u32_e32 v13, s35, v3
	ds_read_b128 v[26:29], v13
	s_lshl_b64 s[36:37], s[6:7], 1
	v_mov_b32_e32 v13, s37
	s_add_i32 s35, s35, 16
	s_cmpk_lg_i32 s35, 0x100
	s_waitcnt lgkmcnt(0)
	v_mul_lo_u32 v30, v27, s6
	v_mul_lo_u32 v31, v26, s7
	v_mad_u64_u32 v[14:15], s[2:3], v26, s6, 0
	v_add3_u32 v15, v15, v31, v30
	v_mul_lo_u32 v29, v29, s6
	v_mul_lo_u32 v32, v28, s7
	v_mad_u64_u32 v[26:27], s[2:3], v28, s6, 0
	v_lshlrev_b64 v[14:15], 1, v[14:15]
	v_add3_u32 v27, v27, v32, v29
	v_add_co_u32_e64 v14, s[2:3], v24, v14
	v_lshlrev_b64 v[26:27], 1, v[26:27]
	v_addc_co_u32_e64 v15, s[2:3], v25, v15, s[2:3]
	v_add_co_u32_e64 v26, s[2:3], v24, v26
	v_addc_co_u32_e64 v27, s[2:3], v25, v27, s[2:3]
	v_add_co_u32_e64 v28, s[2:3], s36, v14
	;; [unrolled: 2-line block ×3, first 2 shown]
	v_addc_co_u32_e64 v31, s[2:3], v27, v13, s[2:3]
	global_load_ushort v13, v[14:15], off
	global_load_ushort v32, v[28:29], off
	;; [unrolled: 1-line block ×4, first 2 shown]
	ds_read_b32 v14, v12
	ds_read_u16 v15, v12 offset:6
	ds_read_u16 v26, v12 offset:8
	v_add_u32_e32 v12, 12, v12
	s_waitcnt vmcnt(3) lgkmcnt(2)
	v_fma_mix_f32 v13, v14, v13, v23 op_sel_hi:[1,1,0]
	s_waitcnt vmcnt(2)
	v_fma_mix_f32 v13, v14, v32, v13 op_sel:[1,0,0] op_sel_hi:[1,1,0]
	s_waitcnt vmcnt(1) lgkmcnt(1)
	v_fma_mix_f32 v13, v15, v33, v13 op_sel_hi:[1,1,0]
	s_waitcnt vmcnt(0) lgkmcnt(0)
	v_fma_mix_f32 v23, v26, v34, v13 op_sel_hi:[1,1,0]
	s_cbranch_scc1 .LBB79_16
	s_branch .LBB79_11
.LBB79_17:                              ;   in Loop: Header=BB79_9 Depth=1
	s_or_b64 exec, exec, s[28:29]
.LBB79_18:                              ;   in Loop: Header=BB79_9 Depth=1
	s_or_b64 exec, exec, s[20:21]
	v_cmp_gt_i64_e32 vcc, s[18:19], v[8:9]
	s_and_saveexec_b64 s[2:3], vcc
	s_cbranch_execz .LBB79_8
; %bb.19:                               ;   in Loop: Header=BB79_9 Depth=1
	s_mov_b64 s[20:21], -1
	s_and_b64 vcc, exec, s[4:5]
	s_cbranch_vccz .LBB79_25
; %bb.20:                               ;   in Loop: Header=BB79_9 Depth=1
	s_and_b64 vcc, exec, s[16:17]
	s_cbranch_vccz .LBB79_22
; %bb.21:                               ;   in Loop: Header=BB79_9 Depth=1
	v_lshlrev_b64 v[10:11], 2, v[8:9]
	v_add_co_u32_e32 v10, vcc, v21, v10
	v_addc_co_u32_e32 v11, vcc, v22, v11, vcc
	global_load_dword v12, v[10:11], off
	v_mul_f32_e32 v13, s24, v23
	s_mov_b64 s[20:21], 0
	s_waitcnt vmcnt(0)
	v_fmac_f32_e32 v13, s26, v12
	global_store_dword v[10:11], v13, off
.LBB79_22:                              ;   in Loop: Header=BB79_9 Depth=1
	s_andn2_b64 vcc, exec, s[20:21]
	s_cbranch_vccnz .LBB79_24
; %bb.23:                               ;   in Loop: Header=BB79_9 Depth=1
	v_mul_lo_u32 v12, v9, s22
	v_mul_lo_u32 v13, v8, s23
	v_mad_u64_u32 v[10:11], s[20:21], v8, s22, 0
	v_add3_u32 v11, v11, v13, v12
	v_lshlrev_b64 v[10:11], 2, v[10:11]
	v_add_co_u32_e32 v10, vcc, v19, v10
	v_addc_co_u32_e32 v11, vcc, v20, v11, vcc
	global_load_dword v12, v[10:11], off
	v_mul_f32_e32 v13, s24, v23
	s_waitcnt vmcnt(0)
	v_fmac_f32_e32 v13, s26, v12
	global_store_dword v[10:11], v13, off
.LBB79_24:                              ;   in Loop: Header=BB79_9 Depth=1
	s_mov_b64 s[20:21], 0
.LBB79_25:                              ;   in Loop: Header=BB79_9 Depth=1
	s_andn2_b64 vcc, exec, s[20:21]
	s_cbranch_vccnz .LBB79_8
; %bb.26:                               ;   in Loop: Header=BB79_9 Depth=1
	v_mul_f32_e32 v10, s24, v23
	s_mov_b64 s[20:21], -1
	s_and_b64 vcc, exec, s[16:17]
	s_cbranch_vccz .LBB79_28
; %bb.27:                               ;   in Loop: Header=BB79_9 Depth=1
	v_lshlrev_b64 v[12:13], 2, v[8:9]
	v_add_co_u32_e32 v12, vcc, v21, v12
	v_addc_co_u32_e32 v13, vcc, v22, v13, vcc
	global_store_dword v[12:13], v10, off
	s_mov_b64 s[20:21], 0
.LBB79_28:                              ;   in Loop: Header=BB79_9 Depth=1
	s_andn2_b64 vcc, exec, s[20:21]
	s_cbranch_vccnz .LBB79_8
; %bb.29:                               ;   in Loop: Header=BB79_9 Depth=1
	v_mul_lo_u32 v11, v9, s22
	v_mul_lo_u32 v12, v8, s23
	v_mad_u64_u32 v[8:9], s[20:21], v8, s22, 0
	v_add3_u32 v9, v9, v12, v11
	v_lshlrev_b64 v[8:9], 2, v[8:9]
	v_add_co_u32_e32 v8, vcc, v19, v8
	v_addc_co_u32_e32 v9, vcc, v20, v9, vcc
	global_store_dword v[8:9], v10, off
	s_branch .LBB79_8
.LBB79_30:
	s_endpgm
	.section	.rodata,"a",@progbits
	.p2align	6, 0x0
	.amdhsa_kernel _ZN9rocsparseL29bsrmmnt_small_blockdim_kernelILj64ELj32ELj2EllDF16_DF16_ffEEv20rocsparse_direction_T3_S2_llNS_24const_host_device_scalarIT7_EEPKT2_PKS2_PKT4_PKT5_llS5_PT6_ll16rocsparse_order_21rocsparse_index_base_b
		.amdhsa_group_segment_fixed_size 896
		.amdhsa_private_segment_fixed_size 0
		.amdhsa_kernarg_size 400
		.amdhsa_user_sgpr_count 6
		.amdhsa_user_sgpr_private_segment_buffer 1
		.amdhsa_user_sgpr_dispatch_ptr 0
		.amdhsa_user_sgpr_queue_ptr 0
		.amdhsa_user_sgpr_kernarg_segment_ptr 1
		.amdhsa_user_sgpr_dispatch_id 0
		.amdhsa_user_sgpr_flat_scratch_init 0
		.amdhsa_user_sgpr_kernarg_preload_length 0
		.amdhsa_user_sgpr_kernarg_preload_offset 0
		.amdhsa_user_sgpr_private_segment_size 0
		.amdhsa_uses_dynamic_stack 0
		.amdhsa_system_sgpr_private_segment_wavefront_offset 0
		.amdhsa_system_sgpr_workgroup_id_x 1
		.amdhsa_system_sgpr_workgroup_id_y 0
		.amdhsa_system_sgpr_workgroup_id_z 0
		.amdhsa_system_sgpr_workgroup_info 0
		.amdhsa_system_vgpr_workitem_id 0
		.amdhsa_next_free_vgpr 35
		.amdhsa_next_free_sgpr 38
		.amdhsa_accum_offset 36
		.amdhsa_reserve_vcc 1
		.amdhsa_reserve_flat_scratch 0
		.amdhsa_float_round_mode_32 0
		.amdhsa_float_round_mode_16_64 0
		.amdhsa_float_denorm_mode_32 3
		.amdhsa_float_denorm_mode_16_64 3
		.amdhsa_dx10_clamp 1
		.amdhsa_ieee_mode 1
		.amdhsa_fp16_overflow 0
		.amdhsa_tg_split 0
		.amdhsa_exception_fp_ieee_invalid_op 0
		.amdhsa_exception_fp_denorm_src 0
		.amdhsa_exception_fp_ieee_div_zero 0
		.amdhsa_exception_fp_ieee_overflow 0
		.amdhsa_exception_fp_ieee_underflow 0
		.amdhsa_exception_fp_ieee_inexact 0
		.amdhsa_exception_int_div_zero 0
	.end_amdhsa_kernel
	.section	.text._ZN9rocsparseL29bsrmmnt_small_blockdim_kernelILj64ELj32ELj2EllDF16_DF16_ffEEv20rocsparse_direction_T3_S2_llNS_24const_host_device_scalarIT7_EEPKT2_PKS2_PKT4_PKT5_llS5_PT6_ll16rocsparse_order_21rocsparse_index_base_b,"axG",@progbits,_ZN9rocsparseL29bsrmmnt_small_blockdim_kernelILj64ELj32ELj2EllDF16_DF16_ffEEv20rocsparse_direction_T3_S2_llNS_24const_host_device_scalarIT7_EEPKT2_PKS2_PKT4_PKT5_llS5_PT6_ll16rocsparse_order_21rocsparse_index_base_b,comdat
.Lfunc_end79:
	.size	_ZN9rocsparseL29bsrmmnt_small_blockdim_kernelILj64ELj32ELj2EllDF16_DF16_ffEEv20rocsparse_direction_T3_S2_llNS_24const_host_device_scalarIT7_EEPKT2_PKS2_PKT4_PKT5_llS5_PT6_ll16rocsparse_order_21rocsparse_index_base_b, .Lfunc_end79-_ZN9rocsparseL29bsrmmnt_small_blockdim_kernelILj64ELj32ELj2EllDF16_DF16_ffEEv20rocsparse_direction_T3_S2_llNS_24const_host_device_scalarIT7_EEPKT2_PKS2_PKT4_PKT5_llS5_PT6_ll16rocsparse_order_21rocsparse_index_base_b
                                        ; -- End function
	.section	.AMDGPU.csdata,"",@progbits
; Kernel info:
; codeLenInByte = 1444
; NumSgprs: 42
; NumVgprs: 35
; NumAgprs: 0
; TotalNumVgprs: 35
; ScratchSize: 0
; MemoryBound: 0
; FloatMode: 240
; IeeeMode: 1
; LDSByteSize: 896 bytes/workgroup (compile time only)
; SGPRBlocks: 5
; VGPRBlocks: 4
; NumSGPRsForWavesPerEU: 42
; NumVGPRsForWavesPerEU: 35
; AccumOffset: 36
; Occupancy: 8
; WaveLimiterHint : 1
; COMPUTE_PGM_RSRC2:SCRATCH_EN: 0
; COMPUTE_PGM_RSRC2:USER_SGPR: 6
; COMPUTE_PGM_RSRC2:TRAP_HANDLER: 0
; COMPUTE_PGM_RSRC2:TGID_X_EN: 1
; COMPUTE_PGM_RSRC2:TGID_Y_EN: 0
; COMPUTE_PGM_RSRC2:TGID_Z_EN: 0
; COMPUTE_PGM_RSRC2:TIDIG_COMP_CNT: 0
; COMPUTE_PGM_RSRC3_GFX90A:ACCUM_OFFSET: 8
; COMPUTE_PGM_RSRC3_GFX90A:TG_SPLIT: 0
	.section	.text._ZN9rocsparseL29bsrmmnt_small_blockdim_kernelILj64ELj64ELj2EllDF16_DF16_ffEEv20rocsparse_direction_T3_S2_llNS_24const_host_device_scalarIT7_EEPKT2_PKS2_PKT4_PKT5_llS5_PT6_ll16rocsparse_order_21rocsparse_index_base_b,"axG",@progbits,_ZN9rocsparseL29bsrmmnt_small_blockdim_kernelILj64ELj64ELj2EllDF16_DF16_ffEEv20rocsparse_direction_T3_S2_llNS_24const_host_device_scalarIT7_EEPKT2_PKS2_PKT4_PKT5_llS5_PT6_ll16rocsparse_order_21rocsparse_index_base_b,comdat
	.globl	_ZN9rocsparseL29bsrmmnt_small_blockdim_kernelILj64ELj64ELj2EllDF16_DF16_ffEEv20rocsparse_direction_T3_S2_llNS_24const_host_device_scalarIT7_EEPKT2_PKS2_PKT4_PKT5_llS5_PT6_ll16rocsparse_order_21rocsparse_index_base_b ; -- Begin function _ZN9rocsparseL29bsrmmnt_small_blockdim_kernelILj64ELj64ELj2EllDF16_DF16_ffEEv20rocsparse_direction_T3_S2_llNS_24const_host_device_scalarIT7_EEPKT2_PKS2_PKT4_PKT5_llS5_PT6_ll16rocsparse_order_21rocsparse_index_base_b
	.p2align	8
	.type	_ZN9rocsparseL29bsrmmnt_small_blockdim_kernelILj64ELj64ELj2EllDF16_DF16_ffEEv20rocsparse_direction_T3_S2_llNS_24const_host_device_scalarIT7_EEPKT2_PKS2_PKT4_PKT5_llS5_PT6_ll16rocsparse_order_21rocsparse_index_base_b,@function
_ZN9rocsparseL29bsrmmnt_small_blockdim_kernelILj64ELj64ELj2EllDF16_DF16_ffEEv20rocsparse_direction_T3_S2_llNS_24const_host_device_scalarIT7_EEPKT2_PKS2_PKT4_PKT5_llS5_PT6_ll16rocsparse_order_21rocsparse_index_base_b: ; @_ZN9rocsparseL29bsrmmnt_small_blockdim_kernelILj64ELj64ELj2EllDF16_DF16_ffEEv20rocsparse_direction_T3_S2_llNS_24const_host_device_scalarIT7_EEPKT2_PKS2_PKT4_PKT5_llS5_PT6_ll16rocsparse_order_21rocsparse_index_base_b
; %bb.0:
	s_load_dwordx4 s[0:3], s[4:5], 0x80
	s_load_dwordx2 s[24:25], s[4:5], 0x28
	s_load_dwordx2 s[26:27], s[4:5], 0x60
	s_waitcnt lgkmcnt(0)
	s_bitcmp1_b32 s2, 0
	s_cselect_b64 s[8:9], -1, 0
	s_xor_b64 s[2:3], s[8:9], -1
	s_and_b64 vcc, exec, s[8:9]
	s_cbranch_vccnz .LBB80_2
; %bb.1:
	s_load_dword s24, s[24:25], 0x0
.LBB80_2:
	s_andn2_b64 vcc, exec, s[2:3]
	s_cbranch_vccnz .LBB80_4
; %bb.3:
	s_load_dword s26, s[26:27], 0x0
.LBB80_4:
	s_waitcnt lgkmcnt(0)
	v_cmp_eq_f32_e64 s[2:3], s24, 0
	v_cmp_eq_f32_e64 s[8:9], s26, 1.0
	s_and_b64 s[2:3], s[2:3], s[8:9]
	s_and_b64 vcc, exec, s[2:3]
	s_cbranch_vccnz .LBB80_30
; %bb.5:
	s_load_dword s2, s[4:5], 0x9c
	s_load_dwordx4 s[16:19], s[4:5], 0x8
	v_mov_b32_e32 v3, 0
	s_waitcnt lgkmcnt(0)
	s_and_b32 s2, s2, 0xffff
	s_mul_i32 s6, s6, s2
	v_add_u32_e32 v1, s6, v0
	v_lshrrev_b32_e32 v2, 7, v1
	v_cmp_gt_i64_e32 vcc, s[16:17], v[2:3]
	s_and_saveexec_b64 s[2:3], vcc
	s_cbranch_execz .LBB80_30
; %bb.6:
	v_cmp_lt_i64_e64 s[2:3], s[18:19], 1
	s_and_b64 vcc, exec, s[2:3]
	s_cbranch_vccnz .LBB80_30
; %bb.7:
	s_load_dwordx8 s[8:15], s[4:5], 0x30
	v_lshlrev_b32_e32 v2, 3, v2
	v_lshrrev_b32_e32 v7, 6, v1
	s_cmp_lg_u32 s0, 1
	v_mul_u32_u24_e32 v4, 3, v0
	s_waitcnt lgkmcnt(0)
	global_load_dwordx4 v[8:11], v2, s[8:9]
	s_load_dword s2, s[4:5], 0x0
	s_load_dwordx4 s[20:23], s[4:5], 0x68
	s_load_dwordx2 s[6:7], s[4:5], 0x50
	v_mov_b32_e32 v5, 0x200
	s_cselect_b64 s[16:17], -1, 0
	v_lshl_or_b32 v16, v4, 1, v5
	s_waitcnt lgkmcnt(0)
	s_cmp_eq_u32 s2, 0
	v_mad_u64_u32 v[4:5], s[2:3], v7, s22, 0
	v_mov_b32_e32 v6, v5
	s_cselect_b64 s[2:3], -1, 0
	v_bfe_u32 v2, v1, 6, 1
	v_mov_b32_e32 v3, 0
	v_lshlrev_b32_e32 v12, 2, v7
	v_cndmask_b32_e64 v5, 0, 1, s[2:3]
	v_mad_u64_u32 v[6:7], s[28:29], v7, s23, v[6:7]
	v_mov_b32_e32 v13, s21
	v_add_co_u32_e32 v17, vcc, s20, v12
	v_lshlrev_b64 v[2:3], v5, v[2:3]
	v_mov_b32_e32 v5, v6
	v_addc_co_u32_e32 v18, vcc, 0, v13, vcc
	v_lshlrev_b64 v[4:5], 2, v[4:5]
	v_add_co_u32_e32 v19, vcc, s20, v4
	v_addc_co_u32_e32 v20, vcc, v13, v5, vcc
	s_and_b64 s[2:3], s[2:3], exec
	s_mov_b32 s25, 0
	s_mov_b32 s27, s1
	v_lshlrev_b32_e32 v1, 3, v0
	v_cmp_neq_f32_e64 s[4:5], s26, 0
	s_mov_b64 s[8:9], 0
	s_cselect_b32 s33, 1, 2
	s_mov_b32 s34, 0x5040100
	s_waitcnt vmcnt(0)
	v_subrev_co_u32_e32 v4, vcc, s1, v8
	v_subbrev_co_u32_e32 v5, vcc, 0, v9, vcc
	v_subrev_co_u32_e32 v6, vcc, s1, v10
	v_subbrev_co_u32_e32 v7, vcc, 0, v11, vcc
	v_cmp_lt_i64_e64 s[0:1], v[8:9], v[10:11]
	s_branch .LBB80_9
.LBB80_8:                               ;   in Loop: Header=BB80_9 Depth=1
	s_or_b64 exec, exec, s[2:3]
	s_add_u32 s8, s8, 64
	s_addc_u32 s9, s9, 0
	v_pk_mov_b32 v[8:9], s[18:19], s[18:19] op_sel:[0,1]
	v_cmp_lt_i64_e32 vcc, s[8:9], v[8:9]
	s_cbranch_vccz .LBB80_30
.LBB80_9:                               ; =>This Loop Header: Depth=1
                                        ;     Child Loop BB80_12 Depth 2
                                        ;       Child Loop BB80_16 Depth 3
	v_or_b32_e64 v9, s9, 0
	v_or_b32_e32 v8, s8, v0
	v_mov_b32_e32 v21, 0
	s_and_saveexec_b64 s[20:21], s[0:1]
	s_cbranch_execz .LBB80_18
; %bb.10:                               ;   in Loop: Header=BB80_9 Depth=1
	v_lshlrev_b64 v[10:11], 1, v[8:9]
	v_mov_b32_e32 v12, s15
	v_add_co_u32_e64 v22, s[2:3], s14, v10
	v_cmp_gt_i64_e32 vcc, s[18:19], v[8:9]
	v_addc_co_u32_e64 v23, s[2:3], v12, v11, s[2:3]
	s_mov_b64 s[28:29], 0
	v_mov_b32_e32 v21, 0
	v_pk_mov_b32 v[10:11], v[4:5], v[4:5] op_sel:[0,1]
	s_branch .LBB80_12
.LBB80_11:                              ;   in Loop: Header=BB80_12 Depth=2
	s_or_b64 exec, exec, s[30:31]
	v_add_co_u32_e64 v10, s[2:3], 64, v10
	v_addc_co_u32_e64 v11, s[2:3], 0, v11, s[2:3]
	v_cmp_ge_i64_e64 s[2:3], v[10:11], v[6:7]
	s_or_b64 s[28:29], s[2:3], s[28:29]
	s_andn2_b64 exec, exec, s[28:29]
	s_cbranch_execz .LBB80_17
.LBB80_12:                              ;   Parent Loop BB80_9 Depth=1
                                        ; =>  This Loop Header: Depth=2
                                        ;       Child Loop BB80_16 Depth 3
	v_add_co_u32_e64 v12, s[2:3], v10, v0
	v_addc_co_u32_e64 v13, s[2:3], 0, v11, s[2:3]
	v_cmp_lt_i64_e64 s[2:3], v[12:13], v[6:7]
	v_pk_mov_b32 v[14:15], 0, 0
	v_mov_b32_e32 v24, 0
	s_and_saveexec_b64 s[30:31], s[2:3]
	s_cbranch_execz .LBB80_14
; %bb.13:                               ;   in Loop: Header=BB80_12 Depth=2
	v_lshlrev_b64 v[14:15], 3, v[12:13]
	v_lshlrev_b64 v[12:13], 2, v[12:13]
	v_mov_b32_e32 v24, s11
	v_add_co_u32_e64 v14, s[2:3], s10, v14
	v_or_b32_e32 v13, v13, v3
	v_or_b32_e32 v12, v12, v2
	v_addc_co_u32_e64 v15, s[2:3], v24, v15, s[2:3]
	v_lshlrev_b64 v[24:25], 1, v[12:13]
	v_mov_b32_e32 v26, s13
	v_add_co_u32_e64 v24, s[2:3], s12, v24
	v_or_b32_e32 v13, 0, v13
	v_or_b32_e32 v12, s33, v12
	global_load_dwordx2 v[14:15], v[14:15], off
	v_addc_co_u32_e64 v25, s[2:3], v26, v25, s[2:3]
	v_lshlrev_b64 v[12:13], 1, v[12:13]
	v_add_co_u32_e64 v12, s[2:3], s12, v12
	v_addc_co_u32_e64 v13, s[2:3], v26, v13, s[2:3]
	global_load_ushort v26, v[24:25], off
	global_load_ushort v27, v[12:13], off
	v_mov_b32_e32 v13, s25
	s_waitcnt vmcnt(2)
	v_subrev_co_u32_e64 v12, s[2:3], s27, v14
	v_subb_co_u32_e64 v13, s[2:3], v15, v13, s[2:3]
	v_lshlrev_b64 v[14:15], 1, v[12:13]
	s_waitcnt vmcnt(0)
	v_perm_b32 v24, v27, v26, s34
.LBB80_14:                              ;   in Loop: Header=BB80_12 Depth=2
	s_or_b64 exec, exec, s[30:31]
	ds_write_b64 v1, v[14:15]
	ds_write_b32 v16, v24
	s_waitcnt lgkmcnt(0)
	; wave barrier
	s_waitcnt lgkmcnt(0)
	s_and_saveexec_b64 s[30:31], vcc
	s_cbranch_execz .LBB80_11
; %bb.15:                               ;   in Loop: Header=BB80_12 Depth=2
	s_mov_b32 s35, 0
	v_mov_b32_e32 v12, 0x200
.LBB80_16:                              ;   Parent Loop BB80_9 Depth=1
                                        ;     Parent Loop BB80_12 Depth=2
                                        ; =>    This Inner Loop Header: Depth=3
	v_mov_b32_e32 v13, s35
	ds_read_b128 v[24:27], v13
	s_lshl_b64 s[36:37], s[6:7], 1
	v_mov_b32_e32 v13, s37
	s_add_i32 s35, s35, 16
	s_waitcnt lgkmcnt(0)
	v_readfirstlane_b32 s2, v24
	s_mul_i32 s37, s2, s7
	s_mul_hi_u32 s38, s2, s6
	v_readfirstlane_b32 s3, v26
	v_mul_lo_u32 v15, v25, s6
	s_mul_i32 s2, s2, s6
	s_add_i32 s38, s38, s37
	s_mul_i32 s39, s3, s7
	s_mul_hi_u32 s40, s3, s6
	v_mov_b32_e32 v14, s2
	v_add_u32_e32 v15, s38, v15
	v_mul_lo_u32 v25, v27, s6
	s_mul_i32 s3, s3, s6
	s_add_i32 s40, s40, s39
	v_lshlrev_b64 v[14:15], 1, v[14:15]
	v_mov_b32_e32 v24, s3
	v_add_u32_e32 v25, s40, v25
	v_add_co_u32_e64 v14, s[2:3], v22, v14
	v_lshlrev_b64 v[24:25], 1, v[24:25]
	v_addc_co_u32_e64 v15, s[2:3], v23, v15, s[2:3]
	v_add_co_u32_e64 v24, s[2:3], v22, v24
	v_addc_co_u32_e64 v25, s[2:3], v23, v25, s[2:3]
	v_add_co_u32_e64 v26, s[2:3], s36, v14
	;; [unrolled: 2-line block ×3, first 2 shown]
	v_addc_co_u32_e64 v29, s[2:3], v25, v13, s[2:3]
	global_load_ushort v13, v[14:15], off
	global_load_ushort v30, v[26:27], off
	;; [unrolled: 1-line block ×4, first 2 shown]
	ds_read_b32 v14, v12
	ds_read_u16 v15, v12 offset:6
	ds_read_u16 v24, v12 offset:8
	v_add_u32_e32 v12, 12, v12
	s_cmpk_lg_i32 s35, 0x200
	s_waitcnt vmcnt(3) lgkmcnt(2)
	v_fma_mix_f32 v13, v14, v13, v21 op_sel_hi:[1,1,0]
	s_waitcnt vmcnt(2)
	v_fma_mix_f32 v13, v14, v30, v13 op_sel:[1,0,0] op_sel_hi:[1,1,0]
	s_waitcnt vmcnt(1) lgkmcnt(1)
	v_fma_mix_f32 v13, v15, v31, v13 op_sel_hi:[1,1,0]
	s_waitcnt vmcnt(0) lgkmcnt(0)
	v_fma_mix_f32 v21, v24, v32, v13 op_sel_hi:[1,1,0]
	s_cbranch_scc1 .LBB80_16
	s_branch .LBB80_11
.LBB80_17:                              ;   in Loop: Header=BB80_9 Depth=1
	s_or_b64 exec, exec, s[28:29]
.LBB80_18:                              ;   in Loop: Header=BB80_9 Depth=1
	s_or_b64 exec, exec, s[20:21]
	v_cmp_gt_i64_e32 vcc, s[18:19], v[8:9]
	s_and_saveexec_b64 s[2:3], vcc
	s_cbranch_execz .LBB80_8
; %bb.19:                               ;   in Loop: Header=BB80_9 Depth=1
	s_mov_b64 s[20:21], -1
	s_and_b64 vcc, exec, s[4:5]
	s_cbranch_vccz .LBB80_25
; %bb.20:                               ;   in Loop: Header=BB80_9 Depth=1
	s_and_b64 vcc, exec, s[16:17]
	s_cbranch_vccz .LBB80_22
; %bb.21:                               ;   in Loop: Header=BB80_9 Depth=1
	v_lshlrev_b64 v[10:11], 2, v[8:9]
	v_add_co_u32_e32 v10, vcc, v19, v10
	v_addc_co_u32_e32 v11, vcc, v20, v11, vcc
	global_load_dword v12, v[10:11], off
	v_mul_f32_e32 v13, s24, v21
	s_mov_b64 s[20:21], 0
	s_waitcnt vmcnt(0)
	v_fmac_f32_e32 v13, s26, v12
	global_store_dword v[10:11], v13, off
.LBB80_22:                              ;   in Loop: Header=BB80_9 Depth=1
	s_andn2_b64 vcc, exec, s[20:21]
	s_cbranch_vccnz .LBB80_24
; %bb.23:                               ;   in Loop: Header=BB80_9 Depth=1
	v_mul_lo_u32 v12, v9, s22
	v_mul_lo_u32 v13, v8, s23
	v_mad_u64_u32 v[10:11], s[20:21], v8, s22, 0
	v_add3_u32 v11, v11, v13, v12
	v_lshlrev_b64 v[10:11], 2, v[10:11]
	v_add_co_u32_e32 v10, vcc, v17, v10
	v_addc_co_u32_e32 v11, vcc, v18, v11, vcc
	global_load_dword v12, v[10:11], off
	v_mul_f32_e32 v13, s24, v21
	s_waitcnt vmcnt(0)
	v_fmac_f32_e32 v13, s26, v12
	global_store_dword v[10:11], v13, off
.LBB80_24:                              ;   in Loop: Header=BB80_9 Depth=1
	s_mov_b64 s[20:21], 0
.LBB80_25:                              ;   in Loop: Header=BB80_9 Depth=1
	s_andn2_b64 vcc, exec, s[20:21]
	s_cbranch_vccnz .LBB80_8
; %bb.26:                               ;   in Loop: Header=BB80_9 Depth=1
	v_mul_f32_e32 v10, s24, v21
	s_mov_b64 s[20:21], -1
	s_and_b64 vcc, exec, s[16:17]
	s_cbranch_vccz .LBB80_28
; %bb.27:                               ;   in Loop: Header=BB80_9 Depth=1
	v_lshlrev_b64 v[12:13], 2, v[8:9]
	v_add_co_u32_e32 v12, vcc, v19, v12
	v_addc_co_u32_e32 v13, vcc, v20, v13, vcc
	global_store_dword v[12:13], v10, off
	s_mov_b64 s[20:21], 0
.LBB80_28:                              ;   in Loop: Header=BB80_9 Depth=1
	s_andn2_b64 vcc, exec, s[20:21]
	s_cbranch_vccnz .LBB80_8
; %bb.29:                               ;   in Loop: Header=BB80_9 Depth=1
	v_mul_lo_u32 v11, v9, s22
	v_mul_lo_u32 v12, v8, s23
	v_mad_u64_u32 v[8:9], s[20:21], v8, s22, 0
	v_add3_u32 v9, v9, v12, v11
	v_lshlrev_b64 v[8:9], 2, v[8:9]
	v_add_co_u32_e32 v8, vcc, v17, v8
	v_addc_co_u32_e32 v9, vcc, v18, v9, vcc
	global_store_dword v[8:9], v10, off
	s_branch .LBB80_8
.LBB80_30:
	s_endpgm
	.section	.rodata,"a",@progbits
	.p2align	6, 0x0
	.amdhsa_kernel _ZN9rocsparseL29bsrmmnt_small_blockdim_kernelILj64ELj64ELj2EllDF16_DF16_ffEEv20rocsparse_direction_T3_S2_llNS_24const_host_device_scalarIT7_EEPKT2_PKS2_PKT4_PKT5_llS5_PT6_ll16rocsparse_order_21rocsparse_index_base_b
		.amdhsa_group_segment_fixed_size 896
		.amdhsa_private_segment_fixed_size 0
		.amdhsa_kernarg_size 400
		.amdhsa_user_sgpr_count 6
		.amdhsa_user_sgpr_private_segment_buffer 1
		.amdhsa_user_sgpr_dispatch_ptr 0
		.amdhsa_user_sgpr_queue_ptr 0
		.amdhsa_user_sgpr_kernarg_segment_ptr 1
		.amdhsa_user_sgpr_dispatch_id 0
		.amdhsa_user_sgpr_flat_scratch_init 0
		.amdhsa_user_sgpr_kernarg_preload_length 0
		.amdhsa_user_sgpr_kernarg_preload_offset 0
		.amdhsa_user_sgpr_private_segment_size 0
		.amdhsa_uses_dynamic_stack 0
		.amdhsa_system_sgpr_private_segment_wavefront_offset 0
		.amdhsa_system_sgpr_workgroup_id_x 1
		.amdhsa_system_sgpr_workgroup_id_y 0
		.amdhsa_system_sgpr_workgroup_id_z 0
		.amdhsa_system_sgpr_workgroup_info 0
		.amdhsa_system_vgpr_workitem_id 0
		.amdhsa_next_free_vgpr 33
		.amdhsa_next_free_sgpr 41
		.amdhsa_accum_offset 36
		.amdhsa_reserve_vcc 1
		.amdhsa_reserve_flat_scratch 0
		.amdhsa_float_round_mode_32 0
		.amdhsa_float_round_mode_16_64 0
		.amdhsa_float_denorm_mode_32 3
		.amdhsa_float_denorm_mode_16_64 3
		.amdhsa_dx10_clamp 1
		.amdhsa_ieee_mode 1
		.amdhsa_fp16_overflow 0
		.amdhsa_tg_split 0
		.amdhsa_exception_fp_ieee_invalid_op 0
		.amdhsa_exception_fp_denorm_src 0
		.amdhsa_exception_fp_ieee_div_zero 0
		.amdhsa_exception_fp_ieee_overflow 0
		.amdhsa_exception_fp_ieee_underflow 0
		.amdhsa_exception_fp_ieee_inexact 0
		.amdhsa_exception_int_div_zero 0
	.end_amdhsa_kernel
	.section	.text._ZN9rocsparseL29bsrmmnt_small_blockdim_kernelILj64ELj64ELj2EllDF16_DF16_ffEEv20rocsparse_direction_T3_S2_llNS_24const_host_device_scalarIT7_EEPKT2_PKS2_PKT4_PKT5_llS5_PT6_ll16rocsparse_order_21rocsparse_index_base_b,"axG",@progbits,_ZN9rocsparseL29bsrmmnt_small_blockdim_kernelILj64ELj64ELj2EllDF16_DF16_ffEEv20rocsparse_direction_T3_S2_llNS_24const_host_device_scalarIT7_EEPKT2_PKS2_PKT4_PKT5_llS5_PT6_ll16rocsparse_order_21rocsparse_index_base_b,comdat
.Lfunc_end80:
	.size	_ZN9rocsparseL29bsrmmnt_small_blockdim_kernelILj64ELj64ELj2EllDF16_DF16_ffEEv20rocsparse_direction_T3_S2_llNS_24const_host_device_scalarIT7_EEPKT2_PKS2_PKT4_PKT5_llS5_PT6_ll16rocsparse_order_21rocsparse_index_base_b, .Lfunc_end80-_ZN9rocsparseL29bsrmmnt_small_blockdim_kernelILj64ELj64ELj2EllDF16_DF16_ffEEv20rocsparse_direction_T3_S2_llNS_24const_host_device_scalarIT7_EEPKT2_PKS2_PKT4_PKT5_llS5_PT6_ll16rocsparse_order_21rocsparse_index_base_b
                                        ; -- End function
	.section	.AMDGPU.csdata,"",@progbits
; Kernel info:
; codeLenInByte = 1432
; NumSgprs: 45
; NumVgprs: 33
; NumAgprs: 0
; TotalNumVgprs: 33
; ScratchSize: 0
; MemoryBound: 0
; FloatMode: 240
; IeeeMode: 1
; LDSByteSize: 896 bytes/workgroup (compile time only)
; SGPRBlocks: 5
; VGPRBlocks: 4
; NumSGPRsForWavesPerEU: 45
; NumVGPRsForWavesPerEU: 33
; AccumOffset: 36
; Occupancy: 8
; WaveLimiterHint : 1
; COMPUTE_PGM_RSRC2:SCRATCH_EN: 0
; COMPUTE_PGM_RSRC2:USER_SGPR: 6
; COMPUTE_PGM_RSRC2:TRAP_HANDLER: 0
; COMPUTE_PGM_RSRC2:TGID_X_EN: 1
; COMPUTE_PGM_RSRC2:TGID_Y_EN: 0
; COMPUTE_PGM_RSRC2:TGID_Z_EN: 0
; COMPUTE_PGM_RSRC2:TIDIG_COMP_CNT: 0
; COMPUTE_PGM_RSRC3_GFX90A:ACCUM_OFFSET: 8
; COMPUTE_PGM_RSRC3_GFX90A:TG_SPLIT: 0
	.section	.text._ZN9rocsparseL29bsrmmnt_small_blockdim_kernelILj64ELj8ELj2EiiaaiiEEv20rocsparse_direction_T3_S2_llNS_24const_host_device_scalarIT7_EEPKT2_PKS2_PKT4_PKT5_llS5_PT6_ll16rocsparse_order_21rocsparse_index_base_b,"axG",@progbits,_ZN9rocsparseL29bsrmmnt_small_blockdim_kernelILj64ELj8ELj2EiiaaiiEEv20rocsparse_direction_T3_S2_llNS_24const_host_device_scalarIT7_EEPKT2_PKS2_PKT4_PKT5_llS5_PT6_ll16rocsparse_order_21rocsparse_index_base_b,comdat
	.globl	_ZN9rocsparseL29bsrmmnt_small_blockdim_kernelILj64ELj8ELj2EiiaaiiEEv20rocsparse_direction_T3_S2_llNS_24const_host_device_scalarIT7_EEPKT2_PKS2_PKT4_PKT5_llS5_PT6_ll16rocsparse_order_21rocsparse_index_base_b ; -- Begin function _ZN9rocsparseL29bsrmmnt_small_blockdim_kernelILj64ELj8ELj2EiiaaiiEEv20rocsparse_direction_T3_S2_llNS_24const_host_device_scalarIT7_EEPKT2_PKS2_PKT4_PKT5_llS5_PT6_ll16rocsparse_order_21rocsparse_index_base_b
	.p2align	8
	.type	_ZN9rocsparseL29bsrmmnt_small_blockdim_kernelILj64ELj8ELj2EiiaaiiEEv20rocsparse_direction_T3_S2_llNS_24const_host_device_scalarIT7_EEPKT2_PKS2_PKT4_PKT5_llS5_PT6_ll16rocsparse_order_21rocsparse_index_base_b,@function
_ZN9rocsparseL29bsrmmnt_small_blockdim_kernelILj64ELj8ELj2EiiaaiiEEv20rocsparse_direction_T3_S2_llNS_24const_host_device_scalarIT7_EEPKT2_PKS2_PKT4_PKT5_llS5_PT6_ll16rocsparse_order_21rocsparse_index_base_b: ; @_ZN9rocsparseL29bsrmmnt_small_blockdim_kernelILj64ELj8ELj2EiiaaiiEEv20rocsparse_direction_T3_S2_llNS_24const_host_device_scalarIT7_EEPKT2_PKS2_PKT4_PKT5_llS5_PT6_ll16rocsparse_order_21rocsparse_index_base_b
; %bb.0:
	s_load_dwordx4 s[16:19], s[4:5], 0x78
	s_load_dwordx2 s[8:9], s[4:5], 0x20
	s_mov_b64 s[10:11], -1
                                        ; implicit-def: $sgpr28
	s_waitcnt lgkmcnt(0)
	s_bitcmp1_b32 s18, 0
	s_cselect_b64 s[0:1], -1, 0
	s_xor_b64 s[2:3], s[0:1], -1
	s_and_b64 vcc, exec, s[2:3]
	s_cbranch_vccnz .LBB81_4
; %bb.1:
	s_load_dwordx2 s[0:1], s[4:5], 0x58
	s_andn2_b64 vcc, exec, s[10:11]
	s_cbranch_vccz .LBB81_5
.LBB81_2:
	s_and_b64 vcc, exec, s[2:3]
	s_cbranch_vccz .LBB81_6
.LBB81_3:
	s_waitcnt lgkmcnt(0)
	s_load_dword s29, s[0:1], 0x0
	s_cbranch_execz .LBB81_7
	s_branch .LBB81_8
.LBB81_4:
	s_load_dword s28, s[8:9], 0x0
	s_load_dwordx2 s[0:1], s[4:5], 0x58
	s_cbranch_execnz .LBB81_2
.LBB81_5:
	s_waitcnt lgkmcnt(0)
	s_mov_b32 s28, s8
	s_and_b64 vcc, exec, s[2:3]
	s_cbranch_vccnz .LBB81_3
.LBB81_6:
                                        ; implicit-def: $sgpr29
.LBB81_7:
	s_waitcnt lgkmcnt(0)
	s_mov_b32 s29, s0
.LBB81_8:
	s_waitcnt lgkmcnt(0)
	s_cmp_eq_u32 s28, 0
	s_cselect_b64 s[0:1], -1, 0
	s_cmp_eq_u32 s29, 1
	s_cselect_b64 s[2:3], -1, 0
	s_and_b64 s[0:1], s[0:1], s[2:3]
	s_and_b64 vcc, exec, s[0:1]
	s_cbranch_vccnz .LBB81_35
; %bb.9:
	s_load_dword s0, s[4:5], 0x94
	s_load_dwordx4 s[20:23], s[4:5], 0x0
	s_waitcnt lgkmcnt(0)
	s_and_b32 s0, s0, 0xffff
	s_mul_i32 s6, s6, s0
	v_add_u32_e32 v1, s6, v0
	v_lshrrev_b32_e32 v2, 4, v1
	v_cmp_gt_i32_e32 vcc, s21, v2
	s_and_saveexec_b64 s[0:1], vcc
	s_cbranch_execz .LBB81_35
; %bb.10:
	s_cmp_lt_i32 s22, 1
	s_cbranch_scc1 .LBB81_35
; %bb.11:
	s_load_dwordx8 s[8:15], s[4:5], 0x28
	v_lshlrev_b32_e32 v2, 2, v2
	s_cmp_lg_u32 s29, 0
	v_lshrrev_b32_e32 v7, 3, v1
	v_bfe_u32 v4, v1, 3, 1
	s_waitcnt lgkmcnt(0)
	global_load_dwordx2 v[2:3], v2, s[8:9]
	v_and_b32_e32 v1, 7, v0
	v_lshrrev_b32_e32 v0, 3, v0
	s_load_dwordx4 s[24:27], s[4:5], 0x60
	s_load_dwordx2 s[6:7], s[4:5], 0x48
	s_cselect_b64 s[4:5], -1, 0
	s_cmp_lg_u32 s16, 1
	s_movk_i32 s0, 0x100
	v_lshlrev_b32_e32 v8, 5, v0
	v_mul_u32_u24_e32 v5, 3, v1
	v_mul_u32_u24_e32 v0, 24, v0
	s_cselect_b64 s[8:9], -1, 0
	s_cmp_eq_u32 s20, 0
	v_add3_u32 v10, v5, v0, s0
	s_cselect_b64 s[0:1], -1, 0
	v_cndmask_b32_e64 v5, 0, 1, s[0:1]
	s_and_b64 s[0:1], s[0:1], exec
	v_lshlrev_b32_e32 v11, v5, v4
	s_waitcnt lgkmcnt(0)
	v_mad_u64_u32 v[4:5], s[0:1], v7, s26, 0
	v_mov_b32_e32 v6, v5
	v_lshlrev_b32_e32 v12, 2, v7
	v_mad_u64_u32 v[6:7], s[0:1], v7, s27, v[6:7]
	v_mov_b32_e32 v15, s25
	v_add_co_u32_e32 v12, vcc, s24, v12
	v_mov_b32_e32 v5, v6
	v_addc_co_u32_e32 v13, vcc, 0, v15, vcc
	v_lshlrev_b64 v[4:5], 2, v[4:5]
	v_add_co_u32_e32 v14, vcc, s24, v4
	s_mov_b32 s23, 0
	v_lshl_or_b32 v9, v1, 2, v8
	v_or_b32_e32 v0, 0x100, v0
	s_cselect_b32 s16, 1, 2
	s_mov_b32 s30, s6
	s_mov_b32 s31, s7
	v_addc_co_u32_e32 v15, vcc, v15, v5, vcc
	s_mov_b32 s33, 0xc0c0400
	s_waitcnt vmcnt(0)
	v_subrev_u32_e32 v16, s17, v2
	v_subrev_u32_e32 v17, s17, v3
	v_cmp_lt_i32_e64 s[0:1], v2, v3
	s_branch .LBB81_13
.LBB81_12:                              ;   in Loop: Header=BB81_13 Depth=1
	s_or_b64 exec, exec, s[2:3]
	s_add_i32 s23, s23, 8
	s_cmp_lt_i32 s23, s22
	s_cbranch_scc0 .LBB81_35
.LBB81_13:                              ; =>This Loop Header: Depth=1
                                        ;     Child Loop BB81_16 Depth 2
                                        ;       Child Loop BB81_20 Depth 3
	v_or_b32_e32 v2, s23, v1
	v_ashrrev_i32_e32 v3, 31, v2
	v_mov_b32_e32 v18, 0
	s_and_saveexec_b64 s[18:19], s[0:1]
	s_cbranch_execz .LBB81_23
; %bb.14:                               ;   in Loop: Header=BB81_13 Depth=1
	v_mov_b32_e32 v5, s15
	v_add_co_u32_e64 v4, s[2:3], s14, v2
	v_cmp_gt_i32_e32 vcc, s22, v2
	v_addc_co_u32_e64 v5, s[2:3], v5, v3, s[2:3]
	s_mov_b64 s[20:21], 0
	v_mov_b32_e32 v18, 0
	v_mov_b32_e32 v19, v16
	s_branch .LBB81_16
.LBB81_15:                              ;   in Loop: Header=BB81_16 Depth=2
	s_or_b64 exec, exec, s[2:3]
	v_add_u32_e32 v19, 8, v19
	v_cmp_ge_i32_e64 s[2:3], v19, v17
	s_or_b64 s[20:21], s[2:3], s[20:21]
	s_andn2_b64 exec, exec, s[20:21]
	s_cbranch_execz .LBB81_22
.LBB81_16:                              ;   Parent Loop BB81_13 Depth=1
                                        ; =>  This Loop Header: Depth=2
                                        ;       Child Loop BB81_20 Depth 3
	v_add_u32_e32 v6, v19, v1
	v_cmp_lt_i32_e64 s[2:3], v6, v17
	v_mov_b32_e32 v21, 0
	v_mov_b32_e32 v7, 0
	;; [unrolled: 1-line block ×3, first 2 shown]
	s_and_saveexec_b64 s[24:25], s[2:3]
	s_cbranch_execz .LBB81_18
; %bb.17:                               ;   in Loop: Header=BB81_16 Depth=2
	v_ashrrev_i32_e32 v7, 31, v6
	v_lshlrev_b64 v[20:21], 2, v[6:7]
	v_mov_b32_e32 v7, s11
	v_add_co_u32_e64 v20, s[2:3], s10, v20
	v_addc_co_u32_e64 v21, s[2:3], v7, v21, s[2:3]
	global_load_dword v21, v[20:21], off
	v_lshl_or_b32 v6, v6, 2, v11
	v_or_b32_e32 v22, s16, v6
	global_load_ubyte v7, v6, s[12:13]
	global_load_ubyte v20, v22, s[12:13]
	s_waitcnt vmcnt(2)
	v_subrev_u32_e32 v6, s17, v21
	v_lshlrev_b32_e32 v21, 1, v6
.LBB81_18:                              ;   in Loop: Header=BB81_16 Depth=2
	s_or_b64 exec, exec, s[24:25]
	ds_write_b32 v9, v21
	s_waitcnt vmcnt(1)
	ds_write_b8 v10, v7
	s_waitcnt vmcnt(0)
	ds_write_b8 v10, v20 offset:1
	s_waitcnt lgkmcnt(0)
	; wave barrier
	s_waitcnt lgkmcnt(0)
	s_and_saveexec_b64 s[2:3], vcc
	s_cbranch_execz .LBB81_15
; %bb.19:                               ;   in Loop: Header=BB81_16 Depth=2
	s_mov_b32 s24, 1
	s_mov_b32 s25, 0
	v_mov_b32_e32 v6, 0
	s_mov_b32 s34, 0
.LBB81_20:                              ;   Parent Loop BB81_13 Depth=1
                                        ;     Parent Loop BB81_16 Depth=2
                                        ; =>    This Inner Loop Header: Depth=3
	v_add_u32_e32 v7, s25, v8
	v_mad_u64_u32 v[20:21], s[36:37], s34, 3, v[0:1]
	v_mad_u64_u32 v[22:23], s[36:37], s24, 3, v[0:1]
	ds_read_b64 v[24:25], v7
	ds_read_i8 v7, v20
	ds_read_i8 v28, v20 offset:1
	ds_read_i8 v29, v22
	ds_read_i8 v30, v22 offset:1
	s_waitcnt lgkmcnt(4)
	v_ashrrev_i32_e32 v26, 31, v25
	v_add_u32_e32 v33, 1, v25
	v_ashrrev_i32_e32 v27, 31, v24
	v_mul_lo_u32 v31, s7, v24
	v_mad_u64_u32 v[20:21], s[36:37], s6, v24, v[4:5]
	v_mul_lo_u32 v32, s31, v25
	v_mad_u64_u32 v[22:23], s[36:37], s30, v25, v[4:5]
	v_add_u32_e32 v24, 1, v24
	v_mul_lo_u32 v35, s30, v26
	v_ashrrev_i32_e32 v36, 31, v33
	v_mul_lo_u32 v34, s6, v27
	v_ashrrev_i32_e32 v37, 31, v24
	v_mul_lo_u32 v39, s31, v33
	v_mad_u64_u32 v[26:27], s[36:37], s30, v33, v[4:5]
	v_add3_u32 v23, v32, v23, v35
	v_mul_lo_u32 v32, s30, v36
	v_mul_lo_u32 v38, s7, v24
	v_mad_u64_u32 v[24:25], s[36:37], s6, v24, v[4:5]
	v_add3_u32 v21, v31, v21, v34
	v_mul_lo_u32 v31, s6, v37
	v_add3_u32 v27, v39, v27, v32
	global_load_sbyte v33, v[20:21], off
	global_load_sbyte v34, v[22:23], off
	v_add3_u32 v25, v38, v25, v31
	global_load_sbyte v20, v[26:27], off
	global_load_sbyte v21, v[24:25], off
	s_add_i32 s34, s34, 2
	s_add_i32 s24, s24, 2
	;; [unrolled: 1-line block ×3, first 2 shown]
	s_waitcnt lgkmcnt(0)
	v_perm_b32 v22, v30, v29, s33
	v_perm_b32 v7, v28, v7, s33
	s_cmp_lg_u32 s25, 32
	s_waitcnt vmcnt(1)
	v_perm_b32 v20, v20, v34, s33
	s_waitcnt vmcnt(0)
	v_perm_b32 v21, v21, v33, s33
	v_dot4c_i32_i8_e32 v6, v22, v20
	v_dot4c_i32_i8_e32 v18, v7, v21
	s_cbranch_scc1 .LBB81_20
; %bb.21:                               ;   in Loop: Header=BB81_16 Depth=2
	s_nop 1
	v_add_u32_e32 v18, v18, v6
	s_branch .LBB81_15
.LBB81_22:                              ;   in Loop: Header=BB81_13 Depth=1
	s_or_b64 exec, exec, s[20:21]
.LBB81_23:                              ;   in Loop: Header=BB81_13 Depth=1
	s_or_b64 exec, exec, s[18:19]
	v_cmp_gt_i32_e32 vcc, s22, v2
	s_and_saveexec_b64 s[2:3], vcc
	s_cbranch_execz .LBB81_12
; %bb.24:                               ;   in Loop: Header=BB81_13 Depth=1
	s_mov_b64 s[18:19], -1
	s_and_b64 vcc, exec, s[4:5]
	s_cbranch_vccz .LBB81_30
; %bb.25:                               ;   in Loop: Header=BB81_13 Depth=1
	s_and_b64 vcc, exec, s[8:9]
	s_cbranch_vccz .LBB81_27
; %bb.26:                               ;   in Loop: Header=BB81_13 Depth=1
	v_lshlrev_b64 v[4:5], 2, v[2:3]
	v_add_co_u32_e32 v4, vcc, v14, v4
	v_addc_co_u32_e32 v5, vcc, v15, v5, vcc
	global_load_dword v7, v[4:5], off
	v_mul_lo_u32 v6, v18, s28
	s_waitcnt vmcnt(0)
	v_mad_u64_u32 v[6:7], s[18:19], v7, s29, v[6:7]
	global_store_dword v[4:5], v6, off
	s_mov_b64 s[18:19], 0
.LBB81_27:                              ;   in Loop: Header=BB81_13 Depth=1
	s_andn2_b64 vcc, exec, s[18:19]
	s_cbranch_vccnz .LBB81_29
; %bb.28:                               ;   in Loop: Header=BB81_13 Depth=1
	v_mul_lo_u32 v6, v3, s26
	v_mul_lo_u32 v7, v2, s27
	v_mad_u64_u32 v[4:5], s[18:19], v2, s26, 0
	v_add3_u32 v5, v5, v7, v6
	v_lshlrev_b64 v[4:5], 2, v[4:5]
	v_add_co_u32_e32 v4, vcc, v12, v4
	v_addc_co_u32_e32 v5, vcc, v13, v5, vcc
	global_load_dword v7, v[4:5], off
	v_mul_lo_u32 v6, v18, s28
	s_waitcnt vmcnt(0)
	v_mad_u64_u32 v[6:7], s[18:19], v7, s29, v[6:7]
	global_store_dword v[4:5], v6, off
.LBB81_29:                              ;   in Loop: Header=BB81_13 Depth=1
	s_mov_b64 s[18:19], 0
.LBB81_30:                              ;   in Loop: Header=BB81_13 Depth=1
	s_andn2_b64 vcc, exec, s[18:19]
	s_cbranch_vccnz .LBB81_12
; %bb.31:                               ;   in Loop: Header=BB81_13 Depth=1
	v_mul_lo_u32 v4, v18, s28
	s_mov_b64 s[18:19], -1
	s_and_b64 vcc, exec, s[8:9]
	s_cbranch_vccz .LBB81_33
; %bb.32:                               ;   in Loop: Header=BB81_13 Depth=1
	v_lshlrev_b64 v[6:7], 2, v[2:3]
	v_add_co_u32_e32 v6, vcc, v14, v6
	v_addc_co_u32_e32 v7, vcc, v15, v7, vcc
	global_store_dword v[6:7], v4, off
	s_mov_b64 s[18:19], 0
.LBB81_33:                              ;   in Loop: Header=BB81_13 Depth=1
	s_andn2_b64 vcc, exec, s[18:19]
	s_cbranch_vccnz .LBB81_12
; %bb.34:                               ;   in Loop: Header=BB81_13 Depth=1
	v_mul_lo_u32 v5, v3, s26
	v_mul_lo_u32 v6, v2, s27
	v_mad_u64_u32 v[2:3], s[18:19], v2, s26, 0
	v_add3_u32 v3, v3, v6, v5
	v_lshlrev_b64 v[2:3], 2, v[2:3]
	v_add_co_u32_e32 v2, vcc, v12, v2
	v_addc_co_u32_e32 v3, vcc, v13, v3, vcc
	global_store_dword v[2:3], v4, off
	s_branch .LBB81_12
.LBB81_35:
	s_endpgm
	.section	.rodata,"a",@progbits
	.p2align	6, 0x0
	.amdhsa_kernel _ZN9rocsparseL29bsrmmnt_small_blockdim_kernelILj64ELj8ELj2EiiaaiiEEv20rocsparse_direction_T3_S2_llNS_24const_host_device_scalarIT7_EEPKT2_PKS2_PKT4_PKT5_llS5_PT6_ll16rocsparse_order_21rocsparse_index_base_b
		.amdhsa_group_segment_fixed_size 448
		.amdhsa_private_segment_fixed_size 0
		.amdhsa_kernarg_size 392
		.amdhsa_user_sgpr_count 6
		.amdhsa_user_sgpr_private_segment_buffer 1
		.amdhsa_user_sgpr_dispatch_ptr 0
		.amdhsa_user_sgpr_queue_ptr 0
		.amdhsa_user_sgpr_kernarg_segment_ptr 1
		.amdhsa_user_sgpr_dispatch_id 0
		.amdhsa_user_sgpr_flat_scratch_init 0
		.amdhsa_user_sgpr_kernarg_preload_length 0
		.amdhsa_user_sgpr_kernarg_preload_offset 0
		.amdhsa_user_sgpr_private_segment_size 0
		.amdhsa_uses_dynamic_stack 0
		.amdhsa_system_sgpr_private_segment_wavefront_offset 0
		.amdhsa_system_sgpr_workgroup_id_x 1
		.amdhsa_system_sgpr_workgroup_id_y 0
		.amdhsa_system_sgpr_workgroup_id_z 0
		.amdhsa_system_sgpr_workgroup_info 0
		.amdhsa_system_vgpr_workitem_id 0
		.amdhsa_next_free_vgpr 40
		.amdhsa_next_free_sgpr 38
		.amdhsa_accum_offset 40
		.amdhsa_reserve_vcc 1
		.amdhsa_reserve_flat_scratch 0
		.amdhsa_float_round_mode_32 0
		.amdhsa_float_round_mode_16_64 0
		.amdhsa_float_denorm_mode_32 3
		.amdhsa_float_denorm_mode_16_64 3
		.amdhsa_dx10_clamp 1
		.amdhsa_ieee_mode 1
		.amdhsa_fp16_overflow 0
		.amdhsa_tg_split 0
		.amdhsa_exception_fp_ieee_invalid_op 0
		.amdhsa_exception_fp_denorm_src 0
		.amdhsa_exception_fp_ieee_div_zero 0
		.amdhsa_exception_fp_ieee_overflow 0
		.amdhsa_exception_fp_ieee_underflow 0
		.amdhsa_exception_fp_ieee_inexact 0
		.amdhsa_exception_int_div_zero 0
	.end_amdhsa_kernel
	.section	.text._ZN9rocsparseL29bsrmmnt_small_blockdim_kernelILj64ELj8ELj2EiiaaiiEEv20rocsparse_direction_T3_S2_llNS_24const_host_device_scalarIT7_EEPKT2_PKS2_PKT4_PKT5_llS5_PT6_ll16rocsparse_order_21rocsparse_index_base_b,"axG",@progbits,_ZN9rocsparseL29bsrmmnt_small_blockdim_kernelILj64ELj8ELj2EiiaaiiEEv20rocsparse_direction_T3_S2_llNS_24const_host_device_scalarIT7_EEPKT2_PKS2_PKT4_PKT5_llS5_PT6_ll16rocsparse_order_21rocsparse_index_base_b,comdat
.Lfunc_end81:
	.size	_ZN9rocsparseL29bsrmmnt_small_blockdim_kernelILj64ELj8ELj2EiiaaiiEEv20rocsparse_direction_T3_S2_llNS_24const_host_device_scalarIT7_EEPKT2_PKS2_PKT4_PKT5_llS5_PT6_ll16rocsparse_order_21rocsparse_index_base_b, .Lfunc_end81-_ZN9rocsparseL29bsrmmnt_small_blockdim_kernelILj64ELj8ELj2EiiaaiiEEv20rocsparse_direction_T3_S2_llNS_24const_host_device_scalarIT7_EEPKT2_PKS2_PKT4_PKT5_llS5_PT6_ll16rocsparse_order_21rocsparse_index_base_b
                                        ; -- End function
	.section	.AMDGPU.csdata,"",@progbits
; Kernel info:
; codeLenInByte = 1408
; NumSgprs: 42
; NumVgprs: 40
; NumAgprs: 0
; TotalNumVgprs: 40
; ScratchSize: 0
; MemoryBound: 0
; FloatMode: 240
; IeeeMode: 1
; LDSByteSize: 448 bytes/workgroup (compile time only)
; SGPRBlocks: 5
; VGPRBlocks: 4
; NumSGPRsForWavesPerEU: 42
; NumVGPRsForWavesPerEU: 40
; AccumOffset: 40
; Occupancy: 8
; WaveLimiterHint : 0
; COMPUTE_PGM_RSRC2:SCRATCH_EN: 0
; COMPUTE_PGM_RSRC2:USER_SGPR: 6
; COMPUTE_PGM_RSRC2:TRAP_HANDLER: 0
; COMPUTE_PGM_RSRC2:TGID_X_EN: 1
; COMPUTE_PGM_RSRC2:TGID_Y_EN: 0
; COMPUTE_PGM_RSRC2:TGID_Z_EN: 0
; COMPUTE_PGM_RSRC2:TIDIG_COMP_CNT: 0
; COMPUTE_PGM_RSRC3_GFX90A:ACCUM_OFFSET: 9
; COMPUTE_PGM_RSRC3_GFX90A:TG_SPLIT: 0
	.section	.text._ZN9rocsparseL29bsrmmnt_small_blockdim_kernelILj64ELj16ELj2EiiaaiiEEv20rocsparse_direction_T3_S2_llNS_24const_host_device_scalarIT7_EEPKT2_PKS2_PKT4_PKT5_llS5_PT6_ll16rocsparse_order_21rocsparse_index_base_b,"axG",@progbits,_ZN9rocsparseL29bsrmmnt_small_blockdim_kernelILj64ELj16ELj2EiiaaiiEEv20rocsparse_direction_T3_S2_llNS_24const_host_device_scalarIT7_EEPKT2_PKS2_PKT4_PKT5_llS5_PT6_ll16rocsparse_order_21rocsparse_index_base_b,comdat
	.globl	_ZN9rocsparseL29bsrmmnt_small_blockdim_kernelILj64ELj16ELj2EiiaaiiEEv20rocsparse_direction_T3_S2_llNS_24const_host_device_scalarIT7_EEPKT2_PKS2_PKT4_PKT5_llS5_PT6_ll16rocsparse_order_21rocsparse_index_base_b ; -- Begin function _ZN9rocsparseL29bsrmmnt_small_blockdim_kernelILj64ELj16ELj2EiiaaiiEEv20rocsparse_direction_T3_S2_llNS_24const_host_device_scalarIT7_EEPKT2_PKS2_PKT4_PKT5_llS5_PT6_ll16rocsparse_order_21rocsparse_index_base_b
	.p2align	8
	.type	_ZN9rocsparseL29bsrmmnt_small_blockdim_kernelILj64ELj16ELj2EiiaaiiEEv20rocsparse_direction_T3_S2_llNS_24const_host_device_scalarIT7_EEPKT2_PKS2_PKT4_PKT5_llS5_PT6_ll16rocsparse_order_21rocsparse_index_base_b,@function
_ZN9rocsparseL29bsrmmnt_small_blockdim_kernelILj64ELj16ELj2EiiaaiiEEv20rocsparse_direction_T3_S2_llNS_24const_host_device_scalarIT7_EEPKT2_PKS2_PKT4_PKT5_llS5_PT6_ll16rocsparse_order_21rocsparse_index_base_b: ; @_ZN9rocsparseL29bsrmmnt_small_blockdim_kernelILj64ELj16ELj2EiiaaiiEEv20rocsparse_direction_T3_S2_llNS_24const_host_device_scalarIT7_EEPKT2_PKS2_PKT4_PKT5_llS5_PT6_ll16rocsparse_order_21rocsparse_index_base_b
; %bb.0:
	s_load_dwordx4 s[16:19], s[4:5], 0x78
	s_load_dwordx2 s[8:9], s[4:5], 0x20
	s_mov_b64 s[10:11], -1
                                        ; implicit-def: $sgpr28
	s_waitcnt lgkmcnt(0)
	s_bitcmp1_b32 s18, 0
	s_cselect_b64 s[0:1], -1, 0
	s_xor_b64 s[2:3], s[0:1], -1
	s_and_b64 vcc, exec, s[2:3]
	s_cbranch_vccnz .LBB82_4
; %bb.1:
	s_load_dwordx2 s[0:1], s[4:5], 0x58
	s_andn2_b64 vcc, exec, s[10:11]
	s_cbranch_vccz .LBB82_5
.LBB82_2:
	s_and_b64 vcc, exec, s[2:3]
	s_cbranch_vccz .LBB82_6
.LBB82_3:
	s_waitcnt lgkmcnt(0)
	s_load_dword s29, s[0:1], 0x0
	s_cbranch_execz .LBB82_7
	s_branch .LBB82_8
.LBB82_4:
	s_load_dword s28, s[8:9], 0x0
	s_load_dwordx2 s[0:1], s[4:5], 0x58
	s_cbranch_execnz .LBB82_2
.LBB82_5:
	s_waitcnt lgkmcnt(0)
	s_mov_b32 s28, s8
	s_and_b64 vcc, exec, s[2:3]
	s_cbranch_vccnz .LBB82_3
.LBB82_6:
                                        ; implicit-def: $sgpr29
.LBB82_7:
	s_waitcnt lgkmcnt(0)
	s_mov_b32 s29, s0
.LBB82_8:
	s_waitcnt lgkmcnt(0)
	s_cmp_eq_u32 s28, 0
	s_cselect_b64 s[0:1], -1, 0
	s_cmp_eq_u32 s29, 1
	s_cselect_b64 s[2:3], -1, 0
	s_and_b64 s[0:1], s[0:1], s[2:3]
	s_and_b64 vcc, exec, s[0:1]
	s_cbranch_vccnz .LBB82_35
; %bb.9:
	s_load_dword s0, s[4:5], 0x94
	s_load_dwordx4 s[20:23], s[4:5], 0x0
	s_waitcnt lgkmcnt(0)
	s_and_b32 s0, s0, 0xffff
	s_mul_i32 s6, s6, s0
	v_add_u32_e32 v1, s6, v0
	v_lshrrev_b32_e32 v2, 5, v1
	v_cmp_gt_i32_e32 vcc, s21, v2
	s_and_saveexec_b64 s[0:1], vcc
	s_cbranch_execz .LBB82_35
; %bb.10:
	s_cmp_lt_i32 s22, 1
	s_cbranch_scc1 .LBB82_35
; %bb.11:
	s_load_dwordx8 s[8:15], s[4:5], 0x28
	v_lshlrev_b32_e32 v2, 2, v2
	s_cmp_lg_u32 s29, 0
	v_lshrrev_b32_e32 v7, 4, v1
	v_bfe_u32 v4, v1, 4, 1
	s_waitcnt lgkmcnt(0)
	global_load_dwordx2 v[2:3], v2, s[8:9]
	v_and_b32_e32 v1, 15, v0
	v_lshrrev_b32_e32 v0, 4, v0
	s_load_dwordx4 s[24:27], s[4:5], 0x60
	s_load_dwordx2 s[6:7], s[4:5], 0x48
	s_cselect_b64 s[4:5], -1, 0
	s_cmp_lg_u32 s16, 1
	s_movk_i32 s0, 0x100
	v_lshlrev_b32_e32 v8, 6, v0
	v_mul_u32_u24_e32 v5, 3, v1
	v_mul_u32_u24_e32 v0, 48, v0
	s_cselect_b64 s[8:9], -1, 0
	s_cmp_eq_u32 s20, 0
	v_add3_u32 v10, v5, v0, s0
	s_cselect_b64 s[0:1], -1, 0
	v_cndmask_b32_e64 v5, 0, 1, s[0:1]
	s_and_b64 s[0:1], s[0:1], exec
	v_lshlrev_b32_e32 v11, v5, v4
	s_waitcnt lgkmcnt(0)
	v_mad_u64_u32 v[4:5], s[0:1], v7, s26, 0
	v_mov_b32_e32 v6, v5
	v_lshlrev_b32_e32 v12, 2, v7
	v_mad_u64_u32 v[6:7], s[0:1], v7, s27, v[6:7]
	v_mov_b32_e32 v15, s25
	v_add_co_u32_e32 v12, vcc, s24, v12
	v_mov_b32_e32 v5, v6
	v_addc_co_u32_e32 v13, vcc, 0, v15, vcc
	v_lshlrev_b64 v[4:5], 2, v[4:5]
	v_add_co_u32_e32 v14, vcc, s24, v4
	s_mov_b32 s23, 0
	v_lshl_or_b32 v9, v1, 2, v8
	v_or_b32_e32 v0, 0x100, v0
	s_cselect_b32 s16, 1, 2
	s_mov_b32 s30, s6
	s_mov_b32 s31, s7
	v_addc_co_u32_e32 v15, vcc, v15, v5, vcc
	s_mov_b32 s33, 0xc0c0400
	s_waitcnt vmcnt(0)
	v_subrev_u32_e32 v16, s17, v2
	v_subrev_u32_e32 v17, s17, v3
	v_cmp_lt_i32_e64 s[0:1], v2, v3
	s_branch .LBB82_13
.LBB82_12:                              ;   in Loop: Header=BB82_13 Depth=1
	s_or_b64 exec, exec, s[2:3]
	s_add_i32 s23, s23, 16
	s_cmp_lt_i32 s23, s22
	s_cbranch_scc0 .LBB82_35
.LBB82_13:                              ; =>This Loop Header: Depth=1
                                        ;     Child Loop BB82_16 Depth 2
                                        ;       Child Loop BB82_20 Depth 3
	v_or_b32_e32 v2, s23, v1
	v_ashrrev_i32_e32 v3, 31, v2
	v_mov_b32_e32 v18, 0
	s_and_saveexec_b64 s[18:19], s[0:1]
	s_cbranch_execz .LBB82_23
; %bb.14:                               ;   in Loop: Header=BB82_13 Depth=1
	v_mov_b32_e32 v5, s15
	v_add_co_u32_e64 v4, s[2:3], s14, v2
	v_cmp_gt_i32_e32 vcc, s22, v2
	v_addc_co_u32_e64 v5, s[2:3], v5, v3, s[2:3]
	s_mov_b64 s[20:21], 0
	v_mov_b32_e32 v18, 0
	v_mov_b32_e32 v19, v16
	s_branch .LBB82_16
.LBB82_15:                              ;   in Loop: Header=BB82_16 Depth=2
	s_or_b64 exec, exec, s[2:3]
	v_add_u32_e32 v19, 16, v19
	v_cmp_ge_i32_e64 s[2:3], v19, v17
	s_or_b64 s[20:21], s[2:3], s[20:21]
	s_andn2_b64 exec, exec, s[20:21]
	s_cbranch_execz .LBB82_22
.LBB82_16:                              ;   Parent Loop BB82_13 Depth=1
                                        ; =>  This Loop Header: Depth=2
                                        ;       Child Loop BB82_20 Depth 3
	v_add_u32_e32 v6, v19, v1
	v_cmp_lt_i32_e64 s[2:3], v6, v17
	v_mov_b32_e32 v21, 0
	v_mov_b32_e32 v7, 0
	;; [unrolled: 1-line block ×3, first 2 shown]
	s_and_saveexec_b64 s[24:25], s[2:3]
	s_cbranch_execz .LBB82_18
; %bb.17:                               ;   in Loop: Header=BB82_16 Depth=2
	v_ashrrev_i32_e32 v7, 31, v6
	v_lshlrev_b64 v[20:21], 2, v[6:7]
	v_mov_b32_e32 v7, s11
	v_add_co_u32_e64 v20, s[2:3], s10, v20
	v_addc_co_u32_e64 v21, s[2:3], v7, v21, s[2:3]
	global_load_dword v21, v[20:21], off
	v_lshl_or_b32 v6, v6, 2, v11
	v_or_b32_e32 v22, s16, v6
	global_load_ubyte v7, v6, s[12:13]
	global_load_ubyte v20, v22, s[12:13]
	s_waitcnt vmcnt(2)
	v_subrev_u32_e32 v6, s17, v21
	v_lshlrev_b32_e32 v21, 1, v6
.LBB82_18:                              ;   in Loop: Header=BB82_16 Depth=2
	s_or_b64 exec, exec, s[24:25]
	ds_write_b32 v9, v21
	s_waitcnt vmcnt(1)
	ds_write_b8 v10, v7
	s_waitcnt vmcnt(0)
	ds_write_b8 v10, v20 offset:1
	s_waitcnt lgkmcnt(0)
	; wave barrier
	s_waitcnt lgkmcnt(0)
	s_and_saveexec_b64 s[2:3], vcc
	s_cbranch_execz .LBB82_15
; %bb.19:                               ;   in Loop: Header=BB82_16 Depth=2
	s_mov_b32 s24, 1
	s_mov_b32 s25, 0
	v_mov_b32_e32 v6, 0
	s_mov_b32 s34, 0
.LBB82_20:                              ;   Parent Loop BB82_13 Depth=1
                                        ;     Parent Loop BB82_16 Depth=2
                                        ; =>    This Inner Loop Header: Depth=3
	v_add_u32_e32 v7, s25, v8
	v_mad_u64_u32 v[20:21], s[36:37], s34, 3, v[0:1]
	v_mad_u64_u32 v[22:23], s[36:37], s24, 3, v[0:1]
	ds_read_b64 v[24:25], v7
	ds_read_i8 v7, v20
	ds_read_i8 v28, v20 offset:1
	ds_read_i8 v29, v22
	ds_read_i8 v30, v22 offset:1
	s_waitcnt lgkmcnt(4)
	v_ashrrev_i32_e32 v26, 31, v25
	v_add_u32_e32 v33, 1, v25
	v_ashrrev_i32_e32 v27, 31, v24
	v_mul_lo_u32 v31, s7, v24
	v_mad_u64_u32 v[20:21], s[36:37], s6, v24, v[4:5]
	v_mul_lo_u32 v32, s31, v25
	v_mad_u64_u32 v[22:23], s[36:37], s30, v25, v[4:5]
	v_add_u32_e32 v24, 1, v24
	v_mul_lo_u32 v35, s30, v26
	v_ashrrev_i32_e32 v36, 31, v33
	v_mul_lo_u32 v34, s6, v27
	v_ashrrev_i32_e32 v37, 31, v24
	v_mul_lo_u32 v39, s31, v33
	v_mad_u64_u32 v[26:27], s[36:37], s30, v33, v[4:5]
	v_add3_u32 v23, v32, v23, v35
	v_mul_lo_u32 v32, s30, v36
	v_mul_lo_u32 v38, s7, v24
	v_mad_u64_u32 v[24:25], s[36:37], s6, v24, v[4:5]
	v_add3_u32 v21, v31, v21, v34
	v_mul_lo_u32 v31, s6, v37
	v_add3_u32 v27, v39, v27, v32
	global_load_sbyte v33, v[20:21], off
	global_load_sbyte v34, v[22:23], off
	v_add3_u32 v25, v38, v25, v31
	global_load_sbyte v20, v[26:27], off
	global_load_sbyte v21, v[24:25], off
	s_add_i32 s34, s34, 2
	s_add_i32 s24, s24, 2
	;; [unrolled: 1-line block ×3, first 2 shown]
	s_waitcnt lgkmcnt(0)
	v_perm_b32 v22, v30, v29, s33
	v_perm_b32 v7, v28, v7, s33
	s_cmp_lg_u32 s25, 64
	s_waitcnt vmcnt(1)
	v_perm_b32 v20, v20, v34, s33
	s_waitcnt vmcnt(0)
	v_perm_b32 v21, v21, v33, s33
	v_dot4c_i32_i8_e32 v6, v22, v20
	v_dot4c_i32_i8_e32 v18, v7, v21
	s_cbranch_scc1 .LBB82_20
; %bb.21:                               ;   in Loop: Header=BB82_16 Depth=2
	s_nop 1
	v_add_u32_e32 v18, v18, v6
	s_branch .LBB82_15
.LBB82_22:                              ;   in Loop: Header=BB82_13 Depth=1
	s_or_b64 exec, exec, s[20:21]
.LBB82_23:                              ;   in Loop: Header=BB82_13 Depth=1
	s_or_b64 exec, exec, s[18:19]
	v_cmp_gt_i32_e32 vcc, s22, v2
	s_and_saveexec_b64 s[2:3], vcc
	s_cbranch_execz .LBB82_12
; %bb.24:                               ;   in Loop: Header=BB82_13 Depth=1
	s_mov_b64 s[18:19], -1
	s_and_b64 vcc, exec, s[4:5]
	s_cbranch_vccz .LBB82_30
; %bb.25:                               ;   in Loop: Header=BB82_13 Depth=1
	s_and_b64 vcc, exec, s[8:9]
	s_cbranch_vccz .LBB82_27
; %bb.26:                               ;   in Loop: Header=BB82_13 Depth=1
	v_lshlrev_b64 v[4:5], 2, v[2:3]
	v_add_co_u32_e32 v4, vcc, v14, v4
	v_addc_co_u32_e32 v5, vcc, v15, v5, vcc
	global_load_dword v7, v[4:5], off
	v_mul_lo_u32 v6, v18, s28
	s_waitcnt vmcnt(0)
	v_mad_u64_u32 v[6:7], s[18:19], v7, s29, v[6:7]
	global_store_dword v[4:5], v6, off
	s_mov_b64 s[18:19], 0
.LBB82_27:                              ;   in Loop: Header=BB82_13 Depth=1
	s_andn2_b64 vcc, exec, s[18:19]
	s_cbranch_vccnz .LBB82_29
; %bb.28:                               ;   in Loop: Header=BB82_13 Depth=1
	v_mul_lo_u32 v6, v3, s26
	v_mul_lo_u32 v7, v2, s27
	v_mad_u64_u32 v[4:5], s[18:19], v2, s26, 0
	v_add3_u32 v5, v5, v7, v6
	v_lshlrev_b64 v[4:5], 2, v[4:5]
	v_add_co_u32_e32 v4, vcc, v12, v4
	v_addc_co_u32_e32 v5, vcc, v13, v5, vcc
	global_load_dword v7, v[4:5], off
	v_mul_lo_u32 v6, v18, s28
	s_waitcnt vmcnt(0)
	v_mad_u64_u32 v[6:7], s[18:19], v7, s29, v[6:7]
	global_store_dword v[4:5], v6, off
.LBB82_29:                              ;   in Loop: Header=BB82_13 Depth=1
	s_mov_b64 s[18:19], 0
.LBB82_30:                              ;   in Loop: Header=BB82_13 Depth=1
	s_andn2_b64 vcc, exec, s[18:19]
	s_cbranch_vccnz .LBB82_12
; %bb.31:                               ;   in Loop: Header=BB82_13 Depth=1
	v_mul_lo_u32 v4, v18, s28
	s_mov_b64 s[18:19], -1
	s_and_b64 vcc, exec, s[8:9]
	s_cbranch_vccz .LBB82_33
; %bb.32:                               ;   in Loop: Header=BB82_13 Depth=1
	v_lshlrev_b64 v[6:7], 2, v[2:3]
	v_add_co_u32_e32 v6, vcc, v14, v6
	v_addc_co_u32_e32 v7, vcc, v15, v7, vcc
	global_store_dword v[6:7], v4, off
	s_mov_b64 s[18:19], 0
.LBB82_33:                              ;   in Loop: Header=BB82_13 Depth=1
	s_andn2_b64 vcc, exec, s[18:19]
	s_cbranch_vccnz .LBB82_12
; %bb.34:                               ;   in Loop: Header=BB82_13 Depth=1
	v_mul_lo_u32 v5, v3, s26
	v_mul_lo_u32 v6, v2, s27
	v_mad_u64_u32 v[2:3], s[18:19], v2, s26, 0
	v_add3_u32 v3, v3, v6, v5
	v_lshlrev_b64 v[2:3], 2, v[2:3]
	v_add_co_u32_e32 v2, vcc, v12, v2
	v_addc_co_u32_e32 v3, vcc, v13, v3, vcc
	global_store_dword v[2:3], v4, off
	s_branch .LBB82_12
.LBB82_35:
	s_endpgm
	.section	.rodata,"a",@progbits
	.p2align	6, 0x0
	.amdhsa_kernel _ZN9rocsparseL29bsrmmnt_small_blockdim_kernelILj64ELj16ELj2EiiaaiiEEv20rocsparse_direction_T3_S2_llNS_24const_host_device_scalarIT7_EEPKT2_PKS2_PKT4_PKT5_llS5_PT6_ll16rocsparse_order_21rocsparse_index_base_b
		.amdhsa_group_segment_fixed_size 448
		.amdhsa_private_segment_fixed_size 0
		.amdhsa_kernarg_size 392
		.amdhsa_user_sgpr_count 6
		.amdhsa_user_sgpr_private_segment_buffer 1
		.amdhsa_user_sgpr_dispatch_ptr 0
		.amdhsa_user_sgpr_queue_ptr 0
		.amdhsa_user_sgpr_kernarg_segment_ptr 1
		.amdhsa_user_sgpr_dispatch_id 0
		.amdhsa_user_sgpr_flat_scratch_init 0
		.amdhsa_user_sgpr_kernarg_preload_length 0
		.amdhsa_user_sgpr_kernarg_preload_offset 0
		.amdhsa_user_sgpr_private_segment_size 0
		.amdhsa_uses_dynamic_stack 0
		.amdhsa_system_sgpr_private_segment_wavefront_offset 0
		.amdhsa_system_sgpr_workgroup_id_x 1
		.amdhsa_system_sgpr_workgroup_id_y 0
		.amdhsa_system_sgpr_workgroup_id_z 0
		.amdhsa_system_sgpr_workgroup_info 0
		.amdhsa_system_vgpr_workitem_id 0
		.amdhsa_next_free_vgpr 40
		.amdhsa_next_free_sgpr 38
		.amdhsa_accum_offset 40
		.amdhsa_reserve_vcc 1
		.amdhsa_reserve_flat_scratch 0
		.amdhsa_float_round_mode_32 0
		.amdhsa_float_round_mode_16_64 0
		.amdhsa_float_denorm_mode_32 3
		.amdhsa_float_denorm_mode_16_64 3
		.amdhsa_dx10_clamp 1
		.amdhsa_ieee_mode 1
		.amdhsa_fp16_overflow 0
		.amdhsa_tg_split 0
		.amdhsa_exception_fp_ieee_invalid_op 0
		.amdhsa_exception_fp_denorm_src 0
		.amdhsa_exception_fp_ieee_div_zero 0
		.amdhsa_exception_fp_ieee_overflow 0
		.amdhsa_exception_fp_ieee_underflow 0
		.amdhsa_exception_fp_ieee_inexact 0
		.amdhsa_exception_int_div_zero 0
	.end_amdhsa_kernel
	.section	.text._ZN9rocsparseL29bsrmmnt_small_blockdim_kernelILj64ELj16ELj2EiiaaiiEEv20rocsparse_direction_T3_S2_llNS_24const_host_device_scalarIT7_EEPKT2_PKS2_PKT4_PKT5_llS5_PT6_ll16rocsparse_order_21rocsparse_index_base_b,"axG",@progbits,_ZN9rocsparseL29bsrmmnt_small_blockdim_kernelILj64ELj16ELj2EiiaaiiEEv20rocsparse_direction_T3_S2_llNS_24const_host_device_scalarIT7_EEPKT2_PKS2_PKT4_PKT5_llS5_PT6_ll16rocsparse_order_21rocsparse_index_base_b,comdat
.Lfunc_end82:
	.size	_ZN9rocsparseL29bsrmmnt_small_blockdim_kernelILj64ELj16ELj2EiiaaiiEEv20rocsparse_direction_T3_S2_llNS_24const_host_device_scalarIT7_EEPKT2_PKS2_PKT4_PKT5_llS5_PT6_ll16rocsparse_order_21rocsparse_index_base_b, .Lfunc_end82-_ZN9rocsparseL29bsrmmnt_small_blockdim_kernelILj64ELj16ELj2EiiaaiiEEv20rocsparse_direction_T3_S2_llNS_24const_host_device_scalarIT7_EEPKT2_PKS2_PKT4_PKT5_llS5_PT6_ll16rocsparse_order_21rocsparse_index_base_b
                                        ; -- End function
	.section	.AMDGPU.csdata,"",@progbits
; Kernel info:
; codeLenInByte = 1408
; NumSgprs: 42
; NumVgprs: 40
; NumAgprs: 0
; TotalNumVgprs: 40
; ScratchSize: 0
; MemoryBound: 0
; FloatMode: 240
; IeeeMode: 1
; LDSByteSize: 448 bytes/workgroup (compile time only)
; SGPRBlocks: 5
; VGPRBlocks: 4
; NumSGPRsForWavesPerEU: 42
; NumVGPRsForWavesPerEU: 40
; AccumOffset: 40
; Occupancy: 8
; WaveLimiterHint : 0
; COMPUTE_PGM_RSRC2:SCRATCH_EN: 0
; COMPUTE_PGM_RSRC2:USER_SGPR: 6
; COMPUTE_PGM_RSRC2:TRAP_HANDLER: 0
; COMPUTE_PGM_RSRC2:TGID_X_EN: 1
; COMPUTE_PGM_RSRC2:TGID_Y_EN: 0
; COMPUTE_PGM_RSRC2:TGID_Z_EN: 0
; COMPUTE_PGM_RSRC2:TIDIG_COMP_CNT: 0
; COMPUTE_PGM_RSRC3_GFX90A:ACCUM_OFFSET: 9
; COMPUTE_PGM_RSRC3_GFX90A:TG_SPLIT: 0
	.section	.text._ZN9rocsparseL29bsrmmnt_small_blockdim_kernelILj64ELj32ELj2EiiaaiiEEv20rocsparse_direction_T3_S2_llNS_24const_host_device_scalarIT7_EEPKT2_PKS2_PKT4_PKT5_llS5_PT6_ll16rocsparse_order_21rocsparse_index_base_b,"axG",@progbits,_ZN9rocsparseL29bsrmmnt_small_blockdim_kernelILj64ELj32ELj2EiiaaiiEEv20rocsparse_direction_T3_S2_llNS_24const_host_device_scalarIT7_EEPKT2_PKS2_PKT4_PKT5_llS5_PT6_ll16rocsparse_order_21rocsparse_index_base_b,comdat
	.globl	_ZN9rocsparseL29bsrmmnt_small_blockdim_kernelILj64ELj32ELj2EiiaaiiEEv20rocsparse_direction_T3_S2_llNS_24const_host_device_scalarIT7_EEPKT2_PKS2_PKT4_PKT5_llS5_PT6_ll16rocsparse_order_21rocsparse_index_base_b ; -- Begin function _ZN9rocsparseL29bsrmmnt_small_blockdim_kernelILj64ELj32ELj2EiiaaiiEEv20rocsparse_direction_T3_S2_llNS_24const_host_device_scalarIT7_EEPKT2_PKS2_PKT4_PKT5_llS5_PT6_ll16rocsparse_order_21rocsparse_index_base_b
	.p2align	8
	.type	_ZN9rocsparseL29bsrmmnt_small_blockdim_kernelILj64ELj32ELj2EiiaaiiEEv20rocsparse_direction_T3_S2_llNS_24const_host_device_scalarIT7_EEPKT2_PKS2_PKT4_PKT5_llS5_PT6_ll16rocsparse_order_21rocsparse_index_base_b,@function
_ZN9rocsparseL29bsrmmnt_small_blockdim_kernelILj64ELj32ELj2EiiaaiiEEv20rocsparse_direction_T3_S2_llNS_24const_host_device_scalarIT7_EEPKT2_PKS2_PKT4_PKT5_llS5_PT6_ll16rocsparse_order_21rocsparse_index_base_b: ; @_ZN9rocsparseL29bsrmmnt_small_blockdim_kernelILj64ELj32ELj2EiiaaiiEEv20rocsparse_direction_T3_S2_llNS_24const_host_device_scalarIT7_EEPKT2_PKS2_PKT4_PKT5_llS5_PT6_ll16rocsparse_order_21rocsparse_index_base_b
; %bb.0:
	s_load_dwordx4 s[16:19], s[4:5], 0x78
	s_load_dwordx2 s[8:9], s[4:5], 0x20
	s_mov_b64 s[10:11], -1
                                        ; implicit-def: $sgpr28
	s_waitcnt lgkmcnt(0)
	s_bitcmp1_b32 s18, 0
	s_cselect_b64 s[0:1], -1, 0
	s_xor_b64 s[2:3], s[0:1], -1
	s_and_b64 vcc, exec, s[2:3]
	s_cbranch_vccnz .LBB83_4
; %bb.1:
	s_load_dwordx2 s[0:1], s[4:5], 0x58
	s_andn2_b64 vcc, exec, s[10:11]
	s_cbranch_vccz .LBB83_5
.LBB83_2:
	s_and_b64 vcc, exec, s[2:3]
	s_cbranch_vccz .LBB83_6
.LBB83_3:
	s_waitcnt lgkmcnt(0)
	s_load_dword s29, s[0:1], 0x0
	s_cbranch_execz .LBB83_7
	s_branch .LBB83_8
.LBB83_4:
	s_load_dword s28, s[8:9], 0x0
	s_load_dwordx2 s[0:1], s[4:5], 0x58
	s_cbranch_execnz .LBB83_2
.LBB83_5:
	s_waitcnt lgkmcnt(0)
	s_mov_b32 s28, s8
	s_and_b64 vcc, exec, s[2:3]
	s_cbranch_vccnz .LBB83_3
.LBB83_6:
                                        ; implicit-def: $sgpr29
.LBB83_7:
	s_waitcnt lgkmcnt(0)
	s_mov_b32 s29, s0
.LBB83_8:
	s_waitcnt lgkmcnt(0)
	s_cmp_eq_u32 s28, 0
	s_cselect_b64 s[0:1], -1, 0
	s_cmp_eq_u32 s29, 1
	s_cselect_b64 s[2:3], -1, 0
	s_and_b64 s[0:1], s[0:1], s[2:3]
	s_and_b64 vcc, exec, s[0:1]
	s_cbranch_vccnz .LBB83_35
; %bb.9:
	s_load_dword s0, s[4:5], 0x94
	s_load_dwordx4 s[20:23], s[4:5], 0x0
	s_waitcnt lgkmcnt(0)
	s_and_b32 s0, s0, 0xffff
	s_mul_i32 s6, s6, s0
	v_add_u32_e32 v1, s6, v0
	v_lshrrev_b32_e32 v2, 6, v1
	v_cmp_gt_i32_e32 vcc, s21, v2
	s_and_saveexec_b64 s[0:1], vcc
	s_cbranch_execz .LBB83_35
; %bb.10:
	s_cmp_lt_i32 s22, 1
	s_cbranch_scc1 .LBB83_35
; %bb.11:
	s_load_dwordx8 s[8:15], s[4:5], 0x28
	v_lshlrev_b32_e32 v2, 2, v2
	s_cmp_lg_u32 s29, 0
	v_lshrrev_b32_e32 v7, 5, v1
	v_bfe_u32 v4, v1, 5, 1
	s_waitcnt lgkmcnt(0)
	global_load_dwordx2 v[2:3], v2, s[8:9]
	v_and_b32_e32 v1, 31, v0
	v_lshrrev_b32_e32 v0, 5, v0
	s_load_dwordx4 s[24:27], s[4:5], 0x60
	s_load_dwordx2 s[6:7], s[4:5], 0x48
	s_cselect_b64 s[4:5], -1, 0
	s_cmp_lg_u32 s16, 1
	s_movk_i32 s0, 0x100
	v_lshlrev_b32_e32 v8, 7, v0
	v_mul_u32_u24_e32 v5, 3, v1
	v_mul_u32_u24_e32 v0, 0x60, v0
	s_cselect_b64 s[8:9], -1, 0
	s_cmp_eq_u32 s20, 0
	v_add3_u32 v10, v5, v0, s0
	s_cselect_b64 s[0:1], -1, 0
	v_cndmask_b32_e64 v5, 0, 1, s[0:1]
	s_and_b64 s[0:1], s[0:1], exec
	v_lshlrev_b32_e32 v11, v5, v4
	s_waitcnt lgkmcnt(0)
	v_mad_u64_u32 v[4:5], s[0:1], v7, s26, 0
	v_mov_b32_e32 v6, v5
	v_lshlrev_b32_e32 v12, 2, v7
	v_mad_u64_u32 v[6:7], s[0:1], v7, s27, v[6:7]
	v_mov_b32_e32 v15, s25
	v_add_co_u32_e32 v12, vcc, s24, v12
	v_mov_b32_e32 v5, v6
	v_addc_co_u32_e32 v13, vcc, 0, v15, vcc
	v_lshlrev_b64 v[4:5], 2, v[4:5]
	v_add_co_u32_e32 v14, vcc, s24, v4
	s_mov_b32 s23, 0
	v_lshl_or_b32 v9, v1, 2, v8
	v_or_b32_e32 v0, 0x100, v0
	s_cselect_b32 s16, 1, 2
	s_mov_b32 s30, s6
	s_mov_b32 s31, s7
	v_addc_co_u32_e32 v15, vcc, v15, v5, vcc
	s_mov_b32 s33, 0xc0c0400
	s_waitcnt vmcnt(0)
	v_subrev_u32_e32 v16, s17, v2
	v_subrev_u32_e32 v17, s17, v3
	v_cmp_lt_i32_e64 s[0:1], v2, v3
	s_branch .LBB83_13
.LBB83_12:                              ;   in Loop: Header=BB83_13 Depth=1
	s_or_b64 exec, exec, s[2:3]
	s_add_i32 s23, s23, 32
	s_cmp_lt_i32 s23, s22
	s_cbranch_scc0 .LBB83_35
.LBB83_13:                              ; =>This Loop Header: Depth=1
                                        ;     Child Loop BB83_16 Depth 2
                                        ;       Child Loop BB83_20 Depth 3
	v_or_b32_e32 v2, s23, v1
	v_ashrrev_i32_e32 v3, 31, v2
	v_mov_b32_e32 v18, 0
	s_and_saveexec_b64 s[18:19], s[0:1]
	s_cbranch_execz .LBB83_23
; %bb.14:                               ;   in Loop: Header=BB83_13 Depth=1
	v_mov_b32_e32 v5, s15
	v_add_co_u32_e64 v4, s[2:3], s14, v2
	v_cmp_gt_i32_e32 vcc, s22, v2
	v_addc_co_u32_e64 v5, s[2:3], v5, v3, s[2:3]
	s_mov_b64 s[20:21], 0
	v_mov_b32_e32 v18, 0
	v_mov_b32_e32 v19, v16
	s_branch .LBB83_16
.LBB83_15:                              ;   in Loop: Header=BB83_16 Depth=2
	s_or_b64 exec, exec, s[2:3]
	v_add_u32_e32 v19, 32, v19
	v_cmp_ge_i32_e64 s[2:3], v19, v17
	s_or_b64 s[20:21], s[2:3], s[20:21]
	s_andn2_b64 exec, exec, s[20:21]
	s_cbranch_execz .LBB83_22
.LBB83_16:                              ;   Parent Loop BB83_13 Depth=1
                                        ; =>  This Loop Header: Depth=2
                                        ;       Child Loop BB83_20 Depth 3
	v_add_u32_e32 v6, v19, v1
	v_cmp_lt_i32_e64 s[2:3], v6, v17
	v_mov_b32_e32 v21, 0
	v_mov_b32_e32 v7, 0
	;; [unrolled: 1-line block ×3, first 2 shown]
	s_and_saveexec_b64 s[24:25], s[2:3]
	s_cbranch_execz .LBB83_18
; %bb.17:                               ;   in Loop: Header=BB83_16 Depth=2
	v_ashrrev_i32_e32 v7, 31, v6
	v_lshlrev_b64 v[20:21], 2, v[6:7]
	v_mov_b32_e32 v7, s11
	v_add_co_u32_e64 v20, s[2:3], s10, v20
	v_addc_co_u32_e64 v21, s[2:3], v7, v21, s[2:3]
	global_load_dword v21, v[20:21], off
	v_lshl_or_b32 v6, v6, 2, v11
	v_or_b32_e32 v22, s16, v6
	global_load_ubyte v7, v6, s[12:13]
	global_load_ubyte v20, v22, s[12:13]
	s_waitcnt vmcnt(2)
	v_subrev_u32_e32 v6, s17, v21
	v_lshlrev_b32_e32 v21, 1, v6
.LBB83_18:                              ;   in Loop: Header=BB83_16 Depth=2
	s_or_b64 exec, exec, s[24:25]
	ds_write_b32 v9, v21
	s_waitcnt vmcnt(1)
	ds_write_b8 v10, v7
	s_waitcnt vmcnt(0)
	ds_write_b8 v10, v20 offset:1
	s_waitcnt lgkmcnt(0)
	; wave barrier
	s_waitcnt lgkmcnt(0)
	s_and_saveexec_b64 s[2:3], vcc
	s_cbranch_execz .LBB83_15
; %bb.19:                               ;   in Loop: Header=BB83_16 Depth=2
	s_mov_b32 s24, 1
	s_mov_b32 s25, 0
	v_mov_b32_e32 v6, 0
	s_mov_b32 s34, 0
.LBB83_20:                              ;   Parent Loop BB83_13 Depth=1
                                        ;     Parent Loop BB83_16 Depth=2
                                        ; =>    This Inner Loop Header: Depth=3
	v_add_u32_e32 v7, s25, v8
	v_mad_u64_u32 v[20:21], s[36:37], s34, 3, v[0:1]
	v_mad_u64_u32 v[22:23], s[36:37], s24, 3, v[0:1]
	ds_read_b64 v[24:25], v7
	ds_read_i8 v7, v20
	ds_read_i8 v28, v20 offset:1
	ds_read_i8 v29, v22
	ds_read_i8 v30, v22 offset:1
	s_waitcnt lgkmcnt(4)
	v_ashrrev_i32_e32 v26, 31, v25
	v_add_u32_e32 v33, 1, v25
	v_ashrrev_i32_e32 v27, 31, v24
	v_mul_lo_u32 v31, s7, v24
	v_mad_u64_u32 v[20:21], s[36:37], s6, v24, v[4:5]
	v_mul_lo_u32 v32, s31, v25
	v_mad_u64_u32 v[22:23], s[36:37], s30, v25, v[4:5]
	v_add_u32_e32 v24, 1, v24
	v_mul_lo_u32 v35, s30, v26
	v_ashrrev_i32_e32 v36, 31, v33
	v_mul_lo_u32 v34, s6, v27
	v_ashrrev_i32_e32 v37, 31, v24
	v_mul_lo_u32 v39, s31, v33
	v_mad_u64_u32 v[26:27], s[36:37], s30, v33, v[4:5]
	v_add3_u32 v23, v32, v23, v35
	v_mul_lo_u32 v32, s30, v36
	v_mul_lo_u32 v38, s7, v24
	v_mad_u64_u32 v[24:25], s[36:37], s6, v24, v[4:5]
	v_add3_u32 v21, v31, v21, v34
	v_mul_lo_u32 v31, s6, v37
	v_add3_u32 v27, v39, v27, v32
	global_load_sbyte v33, v[20:21], off
	global_load_sbyte v34, v[22:23], off
	v_add3_u32 v25, v38, v25, v31
	global_load_sbyte v20, v[26:27], off
	global_load_sbyte v21, v[24:25], off
	s_add_i32 s34, s34, 2
	s_add_i32 s24, s24, 2
	;; [unrolled: 1-line block ×3, first 2 shown]
	s_waitcnt lgkmcnt(0)
	v_perm_b32 v22, v30, v29, s33
	v_perm_b32 v7, v28, v7, s33
	s_cmpk_lg_i32 s25, 0x80
	s_waitcnt vmcnt(1)
	v_perm_b32 v20, v20, v34, s33
	s_waitcnt vmcnt(0)
	v_perm_b32 v21, v21, v33, s33
	v_dot4c_i32_i8_e32 v6, v22, v20
	v_dot4c_i32_i8_e32 v18, v7, v21
	s_cbranch_scc1 .LBB83_20
; %bb.21:                               ;   in Loop: Header=BB83_16 Depth=2
	s_nop 1
	v_add_u32_e32 v18, v18, v6
	s_branch .LBB83_15
.LBB83_22:                              ;   in Loop: Header=BB83_13 Depth=1
	s_or_b64 exec, exec, s[20:21]
.LBB83_23:                              ;   in Loop: Header=BB83_13 Depth=1
	s_or_b64 exec, exec, s[18:19]
	v_cmp_gt_i32_e32 vcc, s22, v2
	s_and_saveexec_b64 s[2:3], vcc
	s_cbranch_execz .LBB83_12
; %bb.24:                               ;   in Loop: Header=BB83_13 Depth=1
	s_mov_b64 s[18:19], -1
	s_and_b64 vcc, exec, s[4:5]
	s_cbranch_vccz .LBB83_30
; %bb.25:                               ;   in Loop: Header=BB83_13 Depth=1
	s_and_b64 vcc, exec, s[8:9]
	s_cbranch_vccz .LBB83_27
; %bb.26:                               ;   in Loop: Header=BB83_13 Depth=1
	v_lshlrev_b64 v[4:5], 2, v[2:3]
	v_add_co_u32_e32 v4, vcc, v14, v4
	v_addc_co_u32_e32 v5, vcc, v15, v5, vcc
	global_load_dword v7, v[4:5], off
	v_mul_lo_u32 v6, v18, s28
	s_waitcnt vmcnt(0)
	v_mad_u64_u32 v[6:7], s[18:19], v7, s29, v[6:7]
	global_store_dword v[4:5], v6, off
	s_mov_b64 s[18:19], 0
.LBB83_27:                              ;   in Loop: Header=BB83_13 Depth=1
	s_andn2_b64 vcc, exec, s[18:19]
	s_cbranch_vccnz .LBB83_29
; %bb.28:                               ;   in Loop: Header=BB83_13 Depth=1
	v_mul_lo_u32 v6, v3, s26
	v_mul_lo_u32 v7, v2, s27
	v_mad_u64_u32 v[4:5], s[18:19], v2, s26, 0
	v_add3_u32 v5, v5, v7, v6
	v_lshlrev_b64 v[4:5], 2, v[4:5]
	v_add_co_u32_e32 v4, vcc, v12, v4
	v_addc_co_u32_e32 v5, vcc, v13, v5, vcc
	global_load_dword v7, v[4:5], off
	v_mul_lo_u32 v6, v18, s28
	s_waitcnt vmcnt(0)
	v_mad_u64_u32 v[6:7], s[18:19], v7, s29, v[6:7]
	global_store_dword v[4:5], v6, off
.LBB83_29:                              ;   in Loop: Header=BB83_13 Depth=1
	s_mov_b64 s[18:19], 0
.LBB83_30:                              ;   in Loop: Header=BB83_13 Depth=1
	s_andn2_b64 vcc, exec, s[18:19]
	s_cbranch_vccnz .LBB83_12
; %bb.31:                               ;   in Loop: Header=BB83_13 Depth=1
	v_mul_lo_u32 v4, v18, s28
	s_mov_b64 s[18:19], -1
	s_and_b64 vcc, exec, s[8:9]
	s_cbranch_vccz .LBB83_33
; %bb.32:                               ;   in Loop: Header=BB83_13 Depth=1
	v_lshlrev_b64 v[6:7], 2, v[2:3]
	v_add_co_u32_e32 v6, vcc, v14, v6
	v_addc_co_u32_e32 v7, vcc, v15, v7, vcc
	global_store_dword v[6:7], v4, off
	s_mov_b64 s[18:19], 0
.LBB83_33:                              ;   in Loop: Header=BB83_13 Depth=1
	s_andn2_b64 vcc, exec, s[18:19]
	s_cbranch_vccnz .LBB83_12
; %bb.34:                               ;   in Loop: Header=BB83_13 Depth=1
	v_mul_lo_u32 v5, v3, s26
	v_mul_lo_u32 v6, v2, s27
	v_mad_u64_u32 v[2:3], s[18:19], v2, s26, 0
	v_add3_u32 v3, v3, v6, v5
	v_lshlrev_b64 v[2:3], 2, v[2:3]
	v_add_co_u32_e32 v2, vcc, v12, v2
	v_addc_co_u32_e32 v3, vcc, v13, v3, vcc
	global_store_dword v[2:3], v4, off
	s_branch .LBB83_12
.LBB83_35:
	s_endpgm
	.section	.rodata,"a",@progbits
	.p2align	6, 0x0
	.amdhsa_kernel _ZN9rocsparseL29bsrmmnt_small_blockdim_kernelILj64ELj32ELj2EiiaaiiEEv20rocsparse_direction_T3_S2_llNS_24const_host_device_scalarIT7_EEPKT2_PKS2_PKT4_PKT5_llS5_PT6_ll16rocsparse_order_21rocsparse_index_base_b
		.amdhsa_group_segment_fixed_size 448
		.amdhsa_private_segment_fixed_size 0
		.amdhsa_kernarg_size 392
		.amdhsa_user_sgpr_count 6
		.amdhsa_user_sgpr_private_segment_buffer 1
		.amdhsa_user_sgpr_dispatch_ptr 0
		.amdhsa_user_sgpr_queue_ptr 0
		.amdhsa_user_sgpr_kernarg_segment_ptr 1
		.amdhsa_user_sgpr_dispatch_id 0
		.amdhsa_user_sgpr_flat_scratch_init 0
		.amdhsa_user_sgpr_kernarg_preload_length 0
		.amdhsa_user_sgpr_kernarg_preload_offset 0
		.amdhsa_user_sgpr_private_segment_size 0
		.amdhsa_uses_dynamic_stack 0
		.amdhsa_system_sgpr_private_segment_wavefront_offset 0
		.amdhsa_system_sgpr_workgroup_id_x 1
		.amdhsa_system_sgpr_workgroup_id_y 0
		.amdhsa_system_sgpr_workgroup_id_z 0
		.amdhsa_system_sgpr_workgroup_info 0
		.amdhsa_system_vgpr_workitem_id 0
		.amdhsa_next_free_vgpr 40
		.amdhsa_next_free_sgpr 38
		.amdhsa_accum_offset 40
		.amdhsa_reserve_vcc 1
		.amdhsa_reserve_flat_scratch 0
		.amdhsa_float_round_mode_32 0
		.amdhsa_float_round_mode_16_64 0
		.amdhsa_float_denorm_mode_32 3
		.amdhsa_float_denorm_mode_16_64 3
		.amdhsa_dx10_clamp 1
		.amdhsa_ieee_mode 1
		.amdhsa_fp16_overflow 0
		.amdhsa_tg_split 0
		.amdhsa_exception_fp_ieee_invalid_op 0
		.amdhsa_exception_fp_denorm_src 0
		.amdhsa_exception_fp_ieee_div_zero 0
		.amdhsa_exception_fp_ieee_overflow 0
		.amdhsa_exception_fp_ieee_underflow 0
		.amdhsa_exception_fp_ieee_inexact 0
		.amdhsa_exception_int_div_zero 0
	.end_amdhsa_kernel
	.section	.text._ZN9rocsparseL29bsrmmnt_small_blockdim_kernelILj64ELj32ELj2EiiaaiiEEv20rocsparse_direction_T3_S2_llNS_24const_host_device_scalarIT7_EEPKT2_PKS2_PKT4_PKT5_llS5_PT6_ll16rocsparse_order_21rocsparse_index_base_b,"axG",@progbits,_ZN9rocsparseL29bsrmmnt_small_blockdim_kernelILj64ELj32ELj2EiiaaiiEEv20rocsparse_direction_T3_S2_llNS_24const_host_device_scalarIT7_EEPKT2_PKS2_PKT4_PKT5_llS5_PT6_ll16rocsparse_order_21rocsparse_index_base_b,comdat
.Lfunc_end83:
	.size	_ZN9rocsparseL29bsrmmnt_small_blockdim_kernelILj64ELj32ELj2EiiaaiiEEv20rocsparse_direction_T3_S2_llNS_24const_host_device_scalarIT7_EEPKT2_PKS2_PKT4_PKT5_llS5_PT6_ll16rocsparse_order_21rocsparse_index_base_b, .Lfunc_end83-_ZN9rocsparseL29bsrmmnt_small_blockdim_kernelILj64ELj32ELj2EiiaaiiEEv20rocsparse_direction_T3_S2_llNS_24const_host_device_scalarIT7_EEPKT2_PKS2_PKT4_PKT5_llS5_PT6_ll16rocsparse_order_21rocsparse_index_base_b
                                        ; -- End function
	.section	.AMDGPU.csdata,"",@progbits
; Kernel info:
; codeLenInByte = 1412
; NumSgprs: 42
; NumVgprs: 40
; NumAgprs: 0
; TotalNumVgprs: 40
; ScratchSize: 0
; MemoryBound: 0
; FloatMode: 240
; IeeeMode: 1
; LDSByteSize: 448 bytes/workgroup (compile time only)
; SGPRBlocks: 5
; VGPRBlocks: 4
; NumSGPRsForWavesPerEU: 42
; NumVGPRsForWavesPerEU: 40
; AccumOffset: 40
; Occupancy: 8
; WaveLimiterHint : 0
; COMPUTE_PGM_RSRC2:SCRATCH_EN: 0
; COMPUTE_PGM_RSRC2:USER_SGPR: 6
; COMPUTE_PGM_RSRC2:TRAP_HANDLER: 0
; COMPUTE_PGM_RSRC2:TGID_X_EN: 1
; COMPUTE_PGM_RSRC2:TGID_Y_EN: 0
; COMPUTE_PGM_RSRC2:TGID_Z_EN: 0
; COMPUTE_PGM_RSRC2:TIDIG_COMP_CNT: 0
; COMPUTE_PGM_RSRC3_GFX90A:ACCUM_OFFSET: 9
; COMPUTE_PGM_RSRC3_GFX90A:TG_SPLIT: 0
	.section	.text._ZN9rocsparseL29bsrmmnt_small_blockdim_kernelILj64ELj64ELj2EiiaaiiEEv20rocsparse_direction_T3_S2_llNS_24const_host_device_scalarIT7_EEPKT2_PKS2_PKT4_PKT5_llS5_PT6_ll16rocsparse_order_21rocsparse_index_base_b,"axG",@progbits,_ZN9rocsparseL29bsrmmnt_small_blockdim_kernelILj64ELj64ELj2EiiaaiiEEv20rocsparse_direction_T3_S2_llNS_24const_host_device_scalarIT7_EEPKT2_PKS2_PKT4_PKT5_llS5_PT6_ll16rocsparse_order_21rocsparse_index_base_b,comdat
	.globl	_ZN9rocsparseL29bsrmmnt_small_blockdim_kernelILj64ELj64ELj2EiiaaiiEEv20rocsparse_direction_T3_S2_llNS_24const_host_device_scalarIT7_EEPKT2_PKS2_PKT4_PKT5_llS5_PT6_ll16rocsparse_order_21rocsparse_index_base_b ; -- Begin function _ZN9rocsparseL29bsrmmnt_small_blockdim_kernelILj64ELj64ELj2EiiaaiiEEv20rocsparse_direction_T3_S2_llNS_24const_host_device_scalarIT7_EEPKT2_PKS2_PKT4_PKT5_llS5_PT6_ll16rocsparse_order_21rocsparse_index_base_b
	.p2align	8
	.type	_ZN9rocsparseL29bsrmmnt_small_blockdim_kernelILj64ELj64ELj2EiiaaiiEEv20rocsparse_direction_T3_S2_llNS_24const_host_device_scalarIT7_EEPKT2_PKS2_PKT4_PKT5_llS5_PT6_ll16rocsparse_order_21rocsparse_index_base_b,@function
_ZN9rocsparseL29bsrmmnt_small_blockdim_kernelILj64ELj64ELj2EiiaaiiEEv20rocsparse_direction_T3_S2_llNS_24const_host_device_scalarIT7_EEPKT2_PKS2_PKT4_PKT5_llS5_PT6_ll16rocsparse_order_21rocsparse_index_base_b: ; @_ZN9rocsparseL29bsrmmnt_small_blockdim_kernelILj64ELj64ELj2EiiaaiiEEv20rocsparse_direction_T3_S2_llNS_24const_host_device_scalarIT7_EEPKT2_PKS2_PKT4_PKT5_llS5_PT6_ll16rocsparse_order_21rocsparse_index_base_b
; %bb.0:
	s_load_dwordx4 s[16:19], s[4:5], 0x78
	s_load_dwordx2 s[8:9], s[4:5], 0x20
	s_mov_b64 s[10:11], -1
                                        ; implicit-def: $sgpr28
	s_waitcnt lgkmcnt(0)
	s_bitcmp1_b32 s18, 0
	s_cselect_b64 s[0:1], -1, 0
	s_xor_b64 s[2:3], s[0:1], -1
	s_and_b64 vcc, exec, s[2:3]
	s_cbranch_vccnz .LBB84_4
; %bb.1:
	s_load_dwordx2 s[0:1], s[4:5], 0x58
	s_andn2_b64 vcc, exec, s[10:11]
	s_cbranch_vccz .LBB84_5
.LBB84_2:
	s_and_b64 vcc, exec, s[2:3]
	s_cbranch_vccz .LBB84_6
.LBB84_3:
	s_waitcnt lgkmcnt(0)
	s_load_dword s29, s[0:1], 0x0
	s_cbranch_execz .LBB84_7
	s_branch .LBB84_8
.LBB84_4:
	s_load_dword s28, s[8:9], 0x0
	s_load_dwordx2 s[0:1], s[4:5], 0x58
	s_cbranch_execnz .LBB84_2
.LBB84_5:
	s_waitcnt lgkmcnt(0)
	s_mov_b32 s28, s8
	s_and_b64 vcc, exec, s[2:3]
	s_cbranch_vccnz .LBB84_3
.LBB84_6:
                                        ; implicit-def: $sgpr29
.LBB84_7:
	s_waitcnt lgkmcnt(0)
	s_mov_b32 s29, s0
.LBB84_8:
	s_waitcnt lgkmcnt(0)
	s_cmp_eq_u32 s28, 0
	s_cselect_b64 s[0:1], -1, 0
	s_cmp_eq_u32 s29, 1
	s_cselect_b64 s[2:3], -1, 0
	s_and_b64 s[0:1], s[0:1], s[2:3]
	s_and_b64 vcc, exec, s[0:1]
	s_cbranch_vccnz .LBB84_35
; %bb.9:
	s_load_dword s0, s[4:5], 0x94
	s_load_dwordx4 s[20:23], s[4:5], 0x0
	s_waitcnt lgkmcnt(0)
	s_and_b32 s0, s0, 0xffff
	s_mul_i32 s6, s6, s0
	v_add_u32_e32 v1, s6, v0
	v_lshrrev_b32_e32 v2, 7, v1
	v_cmp_gt_i32_e32 vcc, s21, v2
	s_and_saveexec_b64 s[0:1], vcc
	s_cbranch_execz .LBB84_35
; %bb.10:
	s_cmp_lt_i32 s22, 1
	s_cbranch_scc1 .LBB84_35
; %bb.11:
	s_load_dwordx8 s[8:15], s[4:5], 0x28
	v_lshlrev_b32_e32 v2, 2, v2
	s_cmp_lg_u32 s29, 0
	v_mul_u32_u24_e32 v5, 3, v0
	v_lshrrev_b32_e32 v7, 6, v1
	s_waitcnt lgkmcnt(0)
	global_load_dwordx2 v[2:3], v2, s[8:9]
	s_load_dwordx4 s[24:27], s[4:5], 0x60
	s_load_dwordx2 s[6:7], s[4:5], 0x48
	s_cselect_b64 s[4:5], -1, 0
	s_cmp_lg_u32 s16, 1
	s_cselect_b64 s[8:9], -1, 0
	s_cmp_eq_u32 s20, 0
	s_cselect_b64 s[0:1], -1, 0
	v_bfe_u32 v4, v1, 6, 1
	v_or_b32_e32 v8, 0x100, v5
	v_cndmask_b32_e64 v5, 0, 1, s[0:1]
	s_and_b64 s[0:1], s[0:1], exec
	v_lshlrev_b32_e32 v9, v5, v4
	s_waitcnt lgkmcnt(0)
	v_mad_u64_u32 v[4:5], s[0:1], v7, s26, 0
	v_mov_b32_e32 v6, v5
	v_lshlrev_b32_e32 v10, 2, v7
	v_mad_u64_u32 v[6:7], s[0:1], v7, s27, v[6:7]
	v_mov_b32_e32 v13, s25
	v_add_co_u32_e32 v10, vcc, s24, v10
	v_mov_b32_e32 v5, v6
	v_addc_co_u32_e32 v11, vcc, 0, v13, vcc
	v_lshlrev_b64 v[4:5], 2, v[4:5]
	v_add_co_u32_e32 v12, vcc, s24, v4
	s_mov_b32 s23, 0
	v_lshlrev_b32_e32 v1, 2, v0
	s_cselect_b32 s16, 1, 2
	s_mov_b32 s30, s6
	s_mov_b32 s31, s7
	v_addc_co_u32_e32 v13, vcc, v13, v5, vcc
	s_mov_b32 s33, 0xc0c0400
	s_waitcnt vmcnt(0)
	v_subrev_u32_e32 v14, s17, v2
	v_subrev_u32_e32 v15, s17, v3
	v_cmp_lt_i32_e64 s[0:1], v2, v3
	s_branch .LBB84_13
.LBB84_12:                              ;   in Loop: Header=BB84_13 Depth=1
	s_or_b64 exec, exec, s[2:3]
	s_add_i32 s23, s23, 64
	s_cmp_lt_i32 s23, s22
	s_cbranch_scc0 .LBB84_35
.LBB84_13:                              ; =>This Loop Header: Depth=1
                                        ;     Child Loop BB84_16 Depth 2
                                        ;       Child Loop BB84_20 Depth 3
	v_or_b32_e32 v2, s23, v0
	v_ashrrev_i32_e32 v3, 31, v2
	v_mov_b32_e32 v16, 0
	s_and_saveexec_b64 s[18:19], s[0:1]
	s_cbranch_execz .LBB84_23
; %bb.14:                               ;   in Loop: Header=BB84_13 Depth=1
	v_mov_b32_e32 v5, s15
	v_add_co_u32_e64 v4, s[2:3], s14, v2
	v_cmp_gt_i32_e32 vcc, s22, v2
	v_addc_co_u32_e64 v5, s[2:3], v5, v3, s[2:3]
	s_mov_b64 s[20:21], 0
	v_mov_b32_e32 v16, 0
	v_mov_b32_e32 v17, v14
	s_branch .LBB84_16
.LBB84_15:                              ;   in Loop: Header=BB84_16 Depth=2
	s_or_b64 exec, exec, s[2:3]
	v_add_u32_e32 v17, 64, v17
	v_cmp_ge_i32_e64 s[2:3], v17, v15
	s_or_b64 s[20:21], s[2:3], s[20:21]
	s_andn2_b64 exec, exec, s[20:21]
	s_cbranch_execz .LBB84_22
.LBB84_16:                              ;   Parent Loop BB84_13 Depth=1
                                        ; =>  This Loop Header: Depth=2
                                        ;       Child Loop BB84_20 Depth 3
	v_add_u32_e32 v6, v17, v0
	v_cmp_lt_i32_e64 s[2:3], v6, v15
	v_mov_b32_e32 v19, 0
	v_mov_b32_e32 v7, 0
	;; [unrolled: 1-line block ×3, first 2 shown]
	s_and_saveexec_b64 s[24:25], s[2:3]
	s_cbranch_execz .LBB84_18
; %bb.17:                               ;   in Loop: Header=BB84_16 Depth=2
	v_ashrrev_i32_e32 v7, 31, v6
	v_lshlrev_b64 v[18:19], 2, v[6:7]
	v_mov_b32_e32 v7, s11
	v_add_co_u32_e64 v18, s[2:3], s10, v18
	v_addc_co_u32_e64 v19, s[2:3], v7, v19, s[2:3]
	global_load_dword v19, v[18:19], off
	v_lshl_or_b32 v6, v6, 2, v9
	v_or_b32_e32 v20, s16, v6
	global_load_ubyte v7, v6, s[12:13]
	global_load_ubyte v18, v20, s[12:13]
	s_waitcnt vmcnt(2)
	v_subrev_u32_e32 v6, s17, v19
	v_lshlrev_b32_e32 v19, 1, v6
.LBB84_18:                              ;   in Loop: Header=BB84_16 Depth=2
	s_or_b64 exec, exec, s[24:25]
	ds_write_b32 v1, v19
	s_waitcnt vmcnt(1)
	ds_write_b8 v8, v7
	s_waitcnt vmcnt(0)
	ds_write_b8 v8, v18 offset:1
	s_waitcnt lgkmcnt(0)
	; wave barrier
	s_waitcnt lgkmcnt(0)
	s_and_saveexec_b64 s[2:3], vcc
	s_cbranch_execz .LBB84_15
; %bb.19:                               ;   in Loop: Header=BB84_16 Depth=2
	s_mov_b32 s24, 1
	s_mov_b32 s25, 0
	v_mov_b32_e32 v6, 0
	s_mov_b32 s34, 0
.LBB84_20:                              ;   Parent Loop BB84_13 Depth=1
                                        ;     Parent Loop BB84_16 Depth=2
                                        ; =>    This Inner Loop Header: Depth=3
	v_mov_b32_e32 v7, s25
	s_mul_i32 s35, s24, 3
	s_mul_i32 s36, s34, 3
	v_mov_b32_e32 v20, s36
	v_mov_b32_e32 v21, s35
	ds_read_b64 v[18:19], v7
	ds_read_i8 v7, v20 offset:256
	ds_read_i8 v26, v20 offset:257
	;; [unrolled: 1-line block ×4, first 2 shown]
	s_waitcnt lgkmcnt(4)
	v_readfirstlane_b32 s35, v19
	v_readfirstlane_b32 s36, v18
	s_ashr_i32 s38, s35, 31
	s_ashr_i32 s37, s36, 31
	v_mov_b32_e32 v18, s36
	s_mul_i32 s40, s31, s35
	v_mov_b32_e32 v20, s35
	s_add_i32 s35, s35, 1
	s_mul_i32 s39, s7, s36
	s_add_i32 s41, s36, 1
	s_mul_i32 s42, s6, s37
	v_mad_u64_u32 v[18:19], s[36:37], s6, v18, v[4:5]
	v_mad_u64_u32 v[20:21], s[36:37], s30, v20, v[4:5]
	s_ashr_i32 s43, s35, 31
	s_ashr_i32 s36, s41, 31
	s_mul_i32 s44, s7, s41
	v_mov_b32_e32 v22, s41
	s_mul_i32 s41, s31, s35
	v_mov_b32_e32 v24, s35
	s_add_i32 s42, s42, s39
	s_mul_i32 s39, s30, s43
	s_mul_i32 s38, s30, s38
	;; [unrolled: 1-line block ×3, first 2 shown]
	v_mad_u64_u32 v[24:25], s[36:37], s30, v24, v[4:5]
	s_add_i32 s39, s39, s41
	s_add_i32 s38, s38, s40
	v_mad_u64_u32 v[22:23], s[36:37], s6, v22, v[4:5]
	v_add_u32_e32 v19, s42, v19
	s_add_i32 s35, s35, s44
	v_add_u32_e32 v25, s39, v25
	v_add_u32_e32 v21, s38, v21
	global_load_sbyte v29, v[18:19], off
	global_load_sbyte v30, v[20:21], off
	v_add_u32_e32 v23, s35, v23
	global_load_sbyte v18, v[24:25], off
	global_load_sbyte v19, v[22:23], off
	s_add_i32 s34, s34, 2
	s_add_i32 s24, s24, 2
	;; [unrolled: 1-line block ×3, first 2 shown]
	s_waitcnt lgkmcnt(0)
	v_perm_b32 v20, v28, v27, s33
	v_perm_b32 v7, v26, v7, s33
	s_cmpk_lg_i32 s25, 0x100
	s_waitcnt vmcnt(1)
	v_perm_b32 v18, v18, v30, s33
	s_waitcnt vmcnt(0)
	v_perm_b32 v19, v19, v29, s33
	v_dot4c_i32_i8_e32 v6, v20, v18
	v_dot4c_i32_i8_e32 v16, v7, v19
	s_cbranch_scc1 .LBB84_20
; %bb.21:                               ;   in Loop: Header=BB84_16 Depth=2
	s_nop 1
	v_add_u32_e32 v16, v16, v6
	s_branch .LBB84_15
.LBB84_22:                              ;   in Loop: Header=BB84_13 Depth=1
	s_or_b64 exec, exec, s[20:21]
.LBB84_23:                              ;   in Loop: Header=BB84_13 Depth=1
	s_or_b64 exec, exec, s[18:19]
	v_cmp_gt_i32_e32 vcc, s22, v2
	s_and_saveexec_b64 s[2:3], vcc
	s_cbranch_execz .LBB84_12
; %bb.24:                               ;   in Loop: Header=BB84_13 Depth=1
	s_mov_b64 s[18:19], -1
	s_and_b64 vcc, exec, s[4:5]
	s_cbranch_vccz .LBB84_30
; %bb.25:                               ;   in Loop: Header=BB84_13 Depth=1
	s_and_b64 vcc, exec, s[8:9]
	s_cbranch_vccz .LBB84_27
; %bb.26:                               ;   in Loop: Header=BB84_13 Depth=1
	v_lshlrev_b64 v[4:5], 2, v[2:3]
	v_add_co_u32_e32 v4, vcc, v12, v4
	v_addc_co_u32_e32 v5, vcc, v13, v5, vcc
	global_load_dword v7, v[4:5], off
	v_mul_lo_u32 v6, v16, s28
	s_waitcnt vmcnt(0)
	v_mad_u64_u32 v[6:7], s[18:19], v7, s29, v[6:7]
	global_store_dword v[4:5], v6, off
	s_mov_b64 s[18:19], 0
.LBB84_27:                              ;   in Loop: Header=BB84_13 Depth=1
	s_andn2_b64 vcc, exec, s[18:19]
	s_cbranch_vccnz .LBB84_29
; %bb.28:                               ;   in Loop: Header=BB84_13 Depth=1
	v_mul_lo_u32 v6, v3, s26
	v_mul_lo_u32 v7, v2, s27
	v_mad_u64_u32 v[4:5], s[18:19], v2, s26, 0
	v_add3_u32 v5, v5, v7, v6
	v_lshlrev_b64 v[4:5], 2, v[4:5]
	v_add_co_u32_e32 v4, vcc, v10, v4
	v_addc_co_u32_e32 v5, vcc, v11, v5, vcc
	global_load_dword v7, v[4:5], off
	v_mul_lo_u32 v6, v16, s28
	s_waitcnt vmcnt(0)
	v_mad_u64_u32 v[6:7], s[18:19], v7, s29, v[6:7]
	global_store_dword v[4:5], v6, off
.LBB84_29:                              ;   in Loop: Header=BB84_13 Depth=1
	s_mov_b64 s[18:19], 0
.LBB84_30:                              ;   in Loop: Header=BB84_13 Depth=1
	s_andn2_b64 vcc, exec, s[18:19]
	s_cbranch_vccnz .LBB84_12
; %bb.31:                               ;   in Loop: Header=BB84_13 Depth=1
	v_mul_lo_u32 v4, v16, s28
	s_mov_b64 s[18:19], -1
	s_and_b64 vcc, exec, s[8:9]
	s_cbranch_vccz .LBB84_33
; %bb.32:                               ;   in Loop: Header=BB84_13 Depth=1
	v_lshlrev_b64 v[6:7], 2, v[2:3]
	v_add_co_u32_e32 v6, vcc, v12, v6
	v_addc_co_u32_e32 v7, vcc, v13, v7, vcc
	global_store_dword v[6:7], v4, off
	s_mov_b64 s[18:19], 0
.LBB84_33:                              ;   in Loop: Header=BB84_13 Depth=1
	s_andn2_b64 vcc, exec, s[18:19]
	s_cbranch_vccnz .LBB84_12
; %bb.34:                               ;   in Loop: Header=BB84_13 Depth=1
	v_mul_lo_u32 v5, v3, s26
	v_mul_lo_u32 v6, v2, s27
	v_mad_u64_u32 v[2:3], s[18:19], v2, s26, 0
	v_add3_u32 v3, v3, v6, v5
	v_lshlrev_b64 v[2:3], 2, v[2:3]
	v_add_co_u32_e32 v2, vcc, v10, v2
	v_addc_co_u32_e32 v3, vcc, v11, v3, vcc
	global_store_dword v[2:3], v4, off
	s_branch .LBB84_12
.LBB84_35:
	s_endpgm
	.section	.rodata,"a",@progbits
	.p2align	6, 0x0
	.amdhsa_kernel _ZN9rocsparseL29bsrmmnt_small_blockdim_kernelILj64ELj64ELj2EiiaaiiEEv20rocsparse_direction_T3_S2_llNS_24const_host_device_scalarIT7_EEPKT2_PKS2_PKT4_PKT5_llS5_PT6_ll16rocsparse_order_21rocsparse_index_base_b
		.amdhsa_group_segment_fixed_size 448
		.amdhsa_private_segment_fixed_size 0
		.amdhsa_kernarg_size 392
		.amdhsa_user_sgpr_count 6
		.amdhsa_user_sgpr_private_segment_buffer 1
		.amdhsa_user_sgpr_dispatch_ptr 0
		.amdhsa_user_sgpr_queue_ptr 0
		.amdhsa_user_sgpr_kernarg_segment_ptr 1
		.amdhsa_user_sgpr_dispatch_id 0
		.amdhsa_user_sgpr_flat_scratch_init 0
		.amdhsa_user_sgpr_kernarg_preload_length 0
		.amdhsa_user_sgpr_kernarg_preload_offset 0
		.amdhsa_user_sgpr_private_segment_size 0
		.amdhsa_uses_dynamic_stack 0
		.amdhsa_system_sgpr_private_segment_wavefront_offset 0
		.amdhsa_system_sgpr_workgroup_id_x 1
		.amdhsa_system_sgpr_workgroup_id_y 0
		.amdhsa_system_sgpr_workgroup_id_z 0
		.amdhsa_system_sgpr_workgroup_info 0
		.amdhsa_system_vgpr_workitem_id 0
		.amdhsa_next_free_vgpr 31
		.amdhsa_next_free_sgpr 45
		.amdhsa_accum_offset 32
		.amdhsa_reserve_vcc 1
		.amdhsa_reserve_flat_scratch 0
		.amdhsa_float_round_mode_32 0
		.amdhsa_float_round_mode_16_64 0
		.amdhsa_float_denorm_mode_32 3
		.amdhsa_float_denorm_mode_16_64 3
		.amdhsa_dx10_clamp 1
		.amdhsa_ieee_mode 1
		.amdhsa_fp16_overflow 0
		.amdhsa_tg_split 0
		.amdhsa_exception_fp_ieee_invalid_op 0
		.amdhsa_exception_fp_denorm_src 0
		.amdhsa_exception_fp_ieee_div_zero 0
		.amdhsa_exception_fp_ieee_overflow 0
		.amdhsa_exception_fp_ieee_underflow 0
		.amdhsa_exception_fp_ieee_inexact 0
		.amdhsa_exception_int_div_zero 0
	.end_amdhsa_kernel
	.section	.text._ZN9rocsparseL29bsrmmnt_small_blockdim_kernelILj64ELj64ELj2EiiaaiiEEv20rocsparse_direction_T3_S2_llNS_24const_host_device_scalarIT7_EEPKT2_PKS2_PKT4_PKT5_llS5_PT6_ll16rocsparse_order_21rocsparse_index_base_b,"axG",@progbits,_ZN9rocsparseL29bsrmmnt_small_blockdim_kernelILj64ELj64ELj2EiiaaiiEEv20rocsparse_direction_T3_S2_llNS_24const_host_device_scalarIT7_EEPKT2_PKS2_PKT4_PKT5_llS5_PT6_ll16rocsparse_order_21rocsparse_index_base_b,comdat
.Lfunc_end84:
	.size	_ZN9rocsparseL29bsrmmnt_small_blockdim_kernelILj64ELj64ELj2EiiaaiiEEv20rocsparse_direction_T3_S2_llNS_24const_host_device_scalarIT7_EEPKT2_PKS2_PKT4_PKT5_llS5_PT6_ll16rocsparse_order_21rocsparse_index_base_b, .Lfunc_end84-_ZN9rocsparseL29bsrmmnt_small_blockdim_kernelILj64ELj64ELj2EiiaaiiEEv20rocsparse_direction_T3_S2_llNS_24const_host_device_scalarIT7_EEPKT2_PKS2_PKT4_PKT5_llS5_PT6_ll16rocsparse_order_21rocsparse_index_base_b
                                        ; -- End function
	.section	.AMDGPU.csdata,"",@progbits
; Kernel info:
; codeLenInByte = 1368
; NumSgprs: 49
; NumVgprs: 31
; NumAgprs: 0
; TotalNumVgprs: 31
; ScratchSize: 0
; MemoryBound: 0
; FloatMode: 240
; IeeeMode: 1
; LDSByteSize: 448 bytes/workgroup (compile time only)
; SGPRBlocks: 6
; VGPRBlocks: 3
; NumSGPRsForWavesPerEU: 49
; NumVGPRsForWavesPerEU: 31
; AccumOffset: 32
; Occupancy: 8
; WaveLimiterHint : 0
; COMPUTE_PGM_RSRC2:SCRATCH_EN: 0
; COMPUTE_PGM_RSRC2:USER_SGPR: 6
; COMPUTE_PGM_RSRC2:TRAP_HANDLER: 0
; COMPUTE_PGM_RSRC2:TGID_X_EN: 1
; COMPUTE_PGM_RSRC2:TGID_Y_EN: 0
; COMPUTE_PGM_RSRC2:TGID_Z_EN: 0
; COMPUTE_PGM_RSRC2:TIDIG_COMP_CNT: 0
; COMPUTE_PGM_RSRC3_GFX90A:ACCUM_OFFSET: 7
; COMPUTE_PGM_RSRC3_GFX90A:TG_SPLIT: 0
	.section	.text._ZN9rocsparseL29bsrmmnt_small_blockdim_kernelILj64ELj8ELj2EliaaiiEEv20rocsparse_direction_T3_S2_llNS_24const_host_device_scalarIT7_EEPKT2_PKS2_PKT4_PKT5_llS5_PT6_ll16rocsparse_order_21rocsparse_index_base_b,"axG",@progbits,_ZN9rocsparseL29bsrmmnt_small_blockdim_kernelILj64ELj8ELj2EliaaiiEEv20rocsparse_direction_T3_S2_llNS_24const_host_device_scalarIT7_EEPKT2_PKS2_PKT4_PKT5_llS5_PT6_ll16rocsparse_order_21rocsparse_index_base_b,comdat
	.globl	_ZN9rocsparseL29bsrmmnt_small_blockdim_kernelILj64ELj8ELj2EliaaiiEEv20rocsparse_direction_T3_S2_llNS_24const_host_device_scalarIT7_EEPKT2_PKS2_PKT4_PKT5_llS5_PT6_ll16rocsparse_order_21rocsparse_index_base_b ; -- Begin function _ZN9rocsparseL29bsrmmnt_small_blockdim_kernelILj64ELj8ELj2EliaaiiEEv20rocsparse_direction_T3_S2_llNS_24const_host_device_scalarIT7_EEPKT2_PKS2_PKT4_PKT5_llS5_PT6_ll16rocsparse_order_21rocsparse_index_base_b
	.p2align	8
	.type	_ZN9rocsparseL29bsrmmnt_small_blockdim_kernelILj64ELj8ELj2EliaaiiEEv20rocsparse_direction_T3_S2_llNS_24const_host_device_scalarIT7_EEPKT2_PKS2_PKT4_PKT5_llS5_PT6_ll16rocsparse_order_21rocsparse_index_base_b,@function
_ZN9rocsparseL29bsrmmnt_small_blockdim_kernelILj64ELj8ELj2EliaaiiEEv20rocsparse_direction_T3_S2_llNS_24const_host_device_scalarIT7_EEPKT2_PKS2_PKT4_PKT5_llS5_PT6_ll16rocsparse_order_21rocsparse_index_base_b: ; @_ZN9rocsparseL29bsrmmnt_small_blockdim_kernelILj64ELj8ELj2EliaaiiEEv20rocsparse_direction_T3_S2_llNS_24const_host_device_scalarIT7_EEPKT2_PKS2_PKT4_PKT5_llS5_PT6_ll16rocsparse_order_21rocsparse_index_base_b
; %bb.0:
	s_load_dwordx4 s[16:19], s[4:5], 0x78
	s_load_dwordx2 s[8:9], s[4:5], 0x20
	s_mov_b64 s[10:11], -1
                                        ; implicit-def: $sgpr28
	s_waitcnt lgkmcnt(0)
	s_bitcmp1_b32 s18, 0
	s_cselect_b64 s[0:1], -1, 0
	s_xor_b64 s[2:3], s[0:1], -1
	s_and_b64 vcc, exec, s[2:3]
	s_cbranch_vccnz .LBB85_4
; %bb.1:
	s_load_dwordx2 s[0:1], s[4:5], 0x58
	s_andn2_b64 vcc, exec, s[10:11]
	s_cbranch_vccz .LBB85_5
.LBB85_2:
	s_and_b64 vcc, exec, s[2:3]
	s_cbranch_vccz .LBB85_6
.LBB85_3:
	s_waitcnt lgkmcnt(0)
	s_load_dword s29, s[0:1], 0x0
	s_cbranch_execz .LBB85_7
	s_branch .LBB85_8
.LBB85_4:
	s_load_dword s28, s[8:9], 0x0
	s_load_dwordx2 s[0:1], s[4:5], 0x58
	s_cbranch_execnz .LBB85_2
.LBB85_5:
	s_waitcnt lgkmcnt(0)
	s_mov_b32 s28, s8
	s_and_b64 vcc, exec, s[2:3]
	s_cbranch_vccnz .LBB85_3
.LBB85_6:
                                        ; implicit-def: $sgpr29
.LBB85_7:
	s_waitcnt lgkmcnt(0)
	s_mov_b32 s29, s0
.LBB85_8:
	s_waitcnt lgkmcnt(0)
	s_cmp_eq_u32 s28, 0
	s_cselect_b64 s[0:1], -1, 0
	s_cmp_eq_u32 s29, 1
	s_cselect_b64 s[2:3], -1, 0
	s_and_b64 s[0:1], s[0:1], s[2:3]
	s_and_b64 vcc, exec, s[0:1]
	s_cbranch_vccnz .LBB85_35
; %bb.9:
	s_load_dword s0, s[4:5], 0x94
	s_load_dwordx4 s[20:23], s[4:5], 0x0
	s_waitcnt lgkmcnt(0)
	s_and_b32 s0, s0, 0xffff
	s_mul_i32 s6, s6, s0
	v_add_u32_e32 v1, s6, v0
	v_lshrrev_b32_e32 v2, 4, v1
	v_cmp_gt_i32_e32 vcc, s21, v2
	s_and_saveexec_b64 s[0:1], vcc
	s_cbranch_execz .LBB85_35
; %bb.10:
	s_cmp_lt_i32 s22, 1
	s_cbranch_scc1 .LBB85_35
; %bb.11:
	s_load_dwordx8 s[8:15], s[4:5], 0x28
	v_lshlrev_b32_e32 v2, 3, v2
	s_cmp_lg_u32 s29, 0
	s_movk_i32 s0, 0x100
	v_lshrrev_b32_e32 v7, 3, v1
	s_waitcnt lgkmcnt(0)
	global_load_dwordx4 v[8:11], v2, s[8:9]
	v_and_b32_e32 v2, 7, v0
	v_lshrrev_b32_e32 v0, 3, v0
	s_load_dwordx4 s[24:27], s[4:5], 0x60
	s_load_dwordx2 s[6:7], s[4:5], 0x48
	s_cselect_b64 s[4:5], -1, 0
	s_cmp_lg_u32 s16, 1
	v_mul_u32_u24_e32 v5, 3, v2
	v_mul_u32_u24_e32 v3, 24, v0
	s_cselect_b64 s[8:9], -1, 0
	s_cmp_eq_u32 s20, 0
	v_add3_u32 v17, v5, v3, s0
	s_cselect_b64 s[0:1], -1, 0
	v_bfe_u32 v4, v1, 3, 1
	v_lshlrev_b32_e32 v1, 5, v0
	v_cndmask_b32_e64 v0, 0, 1, s[0:1]
	s_and_b64 s[0:1], s[0:1], exec
	v_lshlrev_b32_e32 v0, v0, v4
	s_waitcnt lgkmcnt(0)
	v_mad_u64_u32 v[4:5], s[0:1], v7, s26, 0
	v_mov_b32_e32 v6, v5
	v_lshlrev_b32_e32 v12, 2, v7
	v_mad_u64_u32 v[6:7], s[0:1], v7, s27, v[6:7]
	v_mov_b32_e32 v13, s25
	v_add_co_u32_e32 v18, vcc, s24, v12
	v_mov_b32_e32 v5, v6
	v_addc_co_u32_e32 v19, vcc, 0, v13, vcc
	v_lshlrev_b64 v[4:5], 2, v[4:5]
	v_add_co_u32_e32 v20, vcc, s24, v4
	v_addc_co_u32_e32 v21, vcc, v13, v5, vcc
	s_mov_b32 s23, 0
	v_lshl_or_b32 v16, v2, 2, v1
	s_cselect_b32 s16, 1, 2
	s_mov_b32 s30, s6
	s_mov_b32 s31, s7
	;; [unrolled: 1-line block ×3, first 2 shown]
	s_waitcnt vmcnt(0)
	v_subrev_co_u32_e32 v4, vcc, s17, v8
	v_subbrev_co_u32_e32 v5, vcc, 0, v9, vcc
	v_subrev_co_u32_e32 v6, vcc, s17, v10
	v_subbrev_co_u32_e32 v7, vcc, 0, v11, vcc
	v_cmp_lt_i64_e64 s[0:1], v[8:9], v[10:11]
	s_branch .LBB85_13
.LBB85_12:                              ;   in Loop: Header=BB85_13 Depth=1
	s_or_b64 exec, exec, s[2:3]
	s_add_i32 s23, s23, 8
	s_cmp_lt_i32 s23, s22
	s_cbranch_scc0 .LBB85_35
.LBB85_13:                              ; =>This Loop Header: Depth=1
                                        ;     Child Loop BB85_16 Depth 2
                                        ;       Child Loop BB85_20 Depth 3
	v_or_b32_e32 v8, s23, v2
	v_ashrrev_i32_e32 v9, 31, v8
	v_mov_b32_e32 v22, 0
	s_and_saveexec_b64 s[18:19], s[0:1]
	s_cbranch_execz .LBB85_23
; %bb.14:                               ;   in Loop: Header=BB85_13 Depth=1
	v_mov_b32_e32 v11, s15
	v_add_co_u32_e64 v10, s[2:3], s14, v8
	v_cmp_gt_i32_e32 vcc, s22, v8
	v_addc_co_u32_e64 v11, s[2:3], v11, v9, s[2:3]
	s_mov_b64 s[20:21], 0
	v_mov_b32_e32 v22, 0
	v_pk_mov_b32 v[12:13], v[4:5], v[4:5] op_sel:[0,1]
	s_branch .LBB85_16
.LBB85_15:                              ;   in Loop: Header=BB85_16 Depth=2
	s_or_b64 exec, exec, s[2:3]
	v_add_co_u32_e64 v12, s[2:3], 8, v12
	v_addc_co_u32_e64 v13, s[2:3], 0, v13, s[2:3]
	v_cmp_ge_i64_e64 s[2:3], v[12:13], v[6:7]
	s_or_b64 s[20:21], s[2:3], s[20:21]
	s_andn2_b64 exec, exec, s[20:21]
	s_cbranch_execz .LBB85_22
.LBB85_16:                              ;   Parent Loop BB85_13 Depth=1
                                        ; =>  This Loop Header: Depth=2
                                        ;       Child Loop BB85_20 Depth 3
	v_add_co_u32_e64 v14, s[2:3], v12, v2
	v_addc_co_u32_e64 v15, s[2:3], 0, v13, s[2:3]
	v_cmp_lt_i64_e64 s[2:3], v[14:15], v[6:7]
	v_mov_b32_e32 v25, 0
	v_mov_b32_e32 v23, 0
	;; [unrolled: 1-line block ×3, first 2 shown]
	s_and_saveexec_b64 s[24:25], s[2:3]
	s_cbranch_execz .LBB85_18
; %bb.17:                               ;   in Loop: Header=BB85_16 Depth=2
	v_lshlrev_b64 v[14:15], 2, v[14:15]
	v_mov_b32_e32 v23, s11
	v_add_co_u32_e64 v24, s[2:3], s10, v14
	v_addc_co_u32_e64 v25, s[2:3], v23, v15, s[2:3]
	global_load_dword v25, v[24:25], off
	v_or_b32_e32 v24, v14, v0
	v_or_b32_e32 v23, 0, v15
	v_mov_b32_e32 v27, s13
	v_add_co_u32_e64 v14, s[2:3], s12, v24
	v_addc_co_u32_e64 v15, s[2:3], v27, v23, s[2:3]
	v_or_b32_e32 v24, s16, v24
	v_or_b32_e32 v23, 0, v23
	v_add_co_u32_e64 v26, s[2:3], s12, v24
	v_addc_co_u32_e64 v27, s[2:3], v27, v23, s[2:3]
	global_load_ubyte v23, v[14:15], off
	global_load_ubyte v24, v[26:27], off
	s_waitcnt vmcnt(2)
	v_subrev_u32_e32 v14, s17, v25
	v_lshlrev_b32_e32 v25, 1, v14
.LBB85_18:                              ;   in Loop: Header=BB85_16 Depth=2
	s_or_b64 exec, exec, s[24:25]
	ds_write_b32 v16, v25
	s_waitcnt vmcnt(1)
	ds_write_b8 v17, v23
	s_waitcnt vmcnt(0)
	ds_write_b8 v17, v24 offset:1
	s_waitcnt lgkmcnt(0)
	; wave barrier
	s_waitcnt lgkmcnt(0)
	s_and_saveexec_b64 s[2:3], vcc
	s_cbranch_execz .LBB85_15
; %bb.19:                               ;   in Loop: Header=BB85_16 Depth=2
	s_mov_b32 s24, 1
	s_mov_b32 s25, 0
	v_mov_b32_e32 v14, 0
	s_mov_b32 s34, 0
.LBB85_20:                              ;   Parent Loop BB85_13 Depth=1
                                        ;     Parent Loop BB85_16 Depth=2
                                        ; =>    This Inner Loop Header: Depth=3
	v_add_u32_e32 v15, s25, v1
	v_or_b32_e32 v24, 0x100, v3
	v_mad_u64_u32 v[26:27], s[36:37], s34, 3, v[24:25]
	v_mad_u64_u32 v[24:25], s[36:37], s24, 3, v[24:25]
	ds_read_b64 v[28:29], v15
	ds_read_i8 v15, v26
	ds_read_i8 v23, v26 offset:1
	ds_read_i8 v32, v24
	ds_read_i8 v33, v24 offset:1
	s_waitcnt lgkmcnt(4)
	v_ashrrev_i32_e32 v30, 31, v29
	v_add_u32_e32 v36, 1, v29
	v_ashrrev_i32_e32 v31, 31, v28
	v_mul_lo_u32 v34, s7, v28
	v_mad_u64_u32 v[24:25], s[36:37], s6, v28, v[10:11]
	v_mul_lo_u32 v35, s31, v29
	v_mad_u64_u32 v[26:27], s[36:37], s30, v29, v[10:11]
	v_add_u32_e32 v28, 1, v28
	v_mul_lo_u32 v38, s30, v30
	v_ashrrev_i32_e32 v39, 31, v36
	v_mul_lo_u32 v37, s6, v31
	v_ashrrev_i32_e32 v40, 31, v28
	v_mul_lo_u32 v42, s31, v36
	v_mad_u64_u32 v[30:31], s[36:37], s30, v36, v[10:11]
	v_add3_u32 v27, v35, v27, v38
	v_mul_lo_u32 v35, s30, v39
	v_mul_lo_u32 v41, s7, v28
	v_mad_u64_u32 v[28:29], s[36:37], s6, v28, v[10:11]
	v_add3_u32 v25, v34, v25, v37
	v_mul_lo_u32 v34, s6, v40
	v_add3_u32 v31, v42, v31, v35
	global_load_sbyte v36, v[24:25], off
	global_load_sbyte v37, v[26:27], off
	v_add3_u32 v29, v41, v29, v34
	global_load_sbyte v24, v[30:31], off
	global_load_sbyte v25, v[28:29], off
	s_add_i32 s25, s25, 8
	s_add_i32 s34, s34, 2
	;; [unrolled: 1-line block ×3, first 2 shown]
	s_waitcnt lgkmcnt(0)
	v_perm_b32 v26, v33, v32, s33
	v_perm_b32 v15, v23, v15, s33
	s_cmp_lg_u32 s25, 32
	s_waitcnt vmcnt(1)
	v_perm_b32 v23, v24, v37, s33
	s_waitcnt vmcnt(0)
	v_perm_b32 v24, v25, v36, s33
	v_dot4c_i32_i8_e32 v14, v26, v23
	v_dot4c_i32_i8_e32 v22, v15, v24
	s_cbranch_scc1 .LBB85_20
; %bb.21:                               ;   in Loop: Header=BB85_16 Depth=2
	s_nop 1
	v_add_u32_e32 v22, v22, v14
	s_branch .LBB85_15
.LBB85_22:                              ;   in Loop: Header=BB85_13 Depth=1
	s_or_b64 exec, exec, s[20:21]
.LBB85_23:                              ;   in Loop: Header=BB85_13 Depth=1
	s_or_b64 exec, exec, s[18:19]
	v_cmp_gt_i32_e32 vcc, s22, v8
	s_and_saveexec_b64 s[2:3], vcc
	s_cbranch_execz .LBB85_12
; %bb.24:                               ;   in Loop: Header=BB85_13 Depth=1
	s_mov_b64 s[18:19], -1
	s_and_b64 vcc, exec, s[4:5]
	s_cbranch_vccz .LBB85_30
; %bb.25:                               ;   in Loop: Header=BB85_13 Depth=1
	s_and_b64 vcc, exec, s[8:9]
	s_cbranch_vccz .LBB85_27
; %bb.26:                               ;   in Loop: Header=BB85_13 Depth=1
	v_lshlrev_b64 v[10:11], 2, v[8:9]
	v_add_co_u32_e32 v10, vcc, v20, v10
	v_addc_co_u32_e32 v11, vcc, v21, v11, vcc
	global_load_dword v13, v[10:11], off
	v_mul_lo_u32 v12, v22, s28
	s_waitcnt vmcnt(0)
	v_mad_u64_u32 v[12:13], s[18:19], v13, s29, v[12:13]
	global_store_dword v[10:11], v12, off
	s_mov_b64 s[18:19], 0
.LBB85_27:                              ;   in Loop: Header=BB85_13 Depth=1
	s_andn2_b64 vcc, exec, s[18:19]
	s_cbranch_vccnz .LBB85_29
; %bb.28:                               ;   in Loop: Header=BB85_13 Depth=1
	v_mul_lo_u32 v12, v9, s26
	v_mul_lo_u32 v13, v8, s27
	v_mad_u64_u32 v[10:11], s[18:19], v8, s26, 0
	v_add3_u32 v11, v11, v13, v12
	v_lshlrev_b64 v[10:11], 2, v[10:11]
	v_add_co_u32_e32 v10, vcc, v18, v10
	v_addc_co_u32_e32 v11, vcc, v19, v11, vcc
	global_load_dword v13, v[10:11], off
	v_mul_lo_u32 v12, v22, s28
	s_waitcnt vmcnt(0)
	v_mad_u64_u32 v[12:13], s[18:19], v13, s29, v[12:13]
	global_store_dword v[10:11], v12, off
.LBB85_29:                              ;   in Loop: Header=BB85_13 Depth=1
	s_mov_b64 s[18:19], 0
.LBB85_30:                              ;   in Loop: Header=BB85_13 Depth=1
	s_andn2_b64 vcc, exec, s[18:19]
	s_cbranch_vccnz .LBB85_12
; %bb.31:                               ;   in Loop: Header=BB85_13 Depth=1
	v_mul_lo_u32 v10, v22, s28
	s_mov_b64 s[18:19], -1
	s_and_b64 vcc, exec, s[8:9]
	s_cbranch_vccz .LBB85_33
; %bb.32:                               ;   in Loop: Header=BB85_13 Depth=1
	v_lshlrev_b64 v[12:13], 2, v[8:9]
	v_add_co_u32_e32 v12, vcc, v20, v12
	v_addc_co_u32_e32 v13, vcc, v21, v13, vcc
	global_store_dword v[12:13], v10, off
	s_mov_b64 s[18:19], 0
.LBB85_33:                              ;   in Loop: Header=BB85_13 Depth=1
	s_andn2_b64 vcc, exec, s[18:19]
	s_cbranch_vccnz .LBB85_12
; %bb.34:                               ;   in Loop: Header=BB85_13 Depth=1
	v_mul_lo_u32 v11, v9, s26
	v_mul_lo_u32 v12, v8, s27
	v_mad_u64_u32 v[8:9], s[18:19], v8, s26, 0
	v_add3_u32 v9, v9, v12, v11
	v_lshlrev_b64 v[8:9], 2, v[8:9]
	v_add_co_u32_e32 v8, vcc, v18, v8
	v_addc_co_u32_e32 v9, vcc, v19, v9, vcc
	global_store_dword v[8:9], v10, off
	s_branch .LBB85_12
.LBB85_35:
	s_endpgm
	.section	.rodata,"a",@progbits
	.p2align	6, 0x0
	.amdhsa_kernel _ZN9rocsparseL29bsrmmnt_small_blockdim_kernelILj64ELj8ELj2EliaaiiEEv20rocsparse_direction_T3_S2_llNS_24const_host_device_scalarIT7_EEPKT2_PKS2_PKT4_PKT5_llS5_PT6_ll16rocsparse_order_21rocsparse_index_base_b
		.amdhsa_group_segment_fixed_size 448
		.amdhsa_private_segment_fixed_size 0
		.amdhsa_kernarg_size 392
		.amdhsa_user_sgpr_count 6
		.amdhsa_user_sgpr_private_segment_buffer 1
		.amdhsa_user_sgpr_dispatch_ptr 0
		.amdhsa_user_sgpr_queue_ptr 0
		.amdhsa_user_sgpr_kernarg_segment_ptr 1
		.amdhsa_user_sgpr_dispatch_id 0
		.amdhsa_user_sgpr_flat_scratch_init 0
		.amdhsa_user_sgpr_kernarg_preload_length 0
		.amdhsa_user_sgpr_kernarg_preload_offset 0
		.amdhsa_user_sgpr_private_segment_size 0
		.amdhsa_uses_dynamic_stack 0
		.amdhsa_system_sgpr_private_segment_wavefront_offset 0
		.amdhsa_system_sgpr_workgroup_id_x 1
		.amdhsa_system_sgpr_workgroup_id_y 0
		.amdhsa_system_sgpr_workgroup_id_z 0
		.amdhsa_system_sgpr_workgroup_info 0
		.amdhsa_system_vgpr_workitem_id 0
		.amdhsa_next_free_vgpr 43
		.amdhsa_next_free_sgpr 38
		.amdhsa_accum_offset 44
		.amdhsa_reserve_vcc 1
		.amdhsa_reserve_flat_scratch 0
		.amdhsa_float_round_mode_32 0
		.amdhsa_float_round_mode_16_64 0
		.amdhsa_float_denorm_mode_32 3
		.amdhsa_float_denorm_mode_16_64 3
		.amdhsa_dx10_clamp 1
		.amdhsa_ieee_mode 1
		.amdhsa_fp16_overflow 0
		.amdhsa_tg_split 0
		.amdhsa_exception_fp_ieee_invalid_op 0
		.amdhsa_exception_fp_denorm_src 0
		.amdhsa_exception_fp_ieee_div_zero 0
		.amdhsa_exception_fp_ieee_overflow 0
		.amdhsa_exception_fp_ieee_underflow 0
		.amdhsa_exception_fp_ieee_inexact 0
		.amdhsa_exception_int_div_zero 0
	.end_amdhsa_kernel
	.section	.text._ZN9rocsparseL29bsrmmnt_small_blockdim_kernelILj64ELj8ELj2EliaaiiEEv20rocsparse_direction_T3_S2_llNS_24const_host_device_scalarIT7_EEPKT2_PKS2_PKT4_PKT5_llS5_PT6_ll16rocsparse_order_21rocsparse_index_base_b,"axG",@progbits,_ZN9rocsparseL29bsrmmnt_small_blockdim_kernelILj64ELj8ELj2EliaaiiEEv20rocsparse_direction_T3_S2_llNS_24const_host_device_scalarIT7_EEPKT2_PKS2_PKT4_PKT5_llS5_PT6_ll16rocsparse_order_21rocsparse_index_base_b,comdat
.Lfunc_end85:
	.size	_ZN9rocsparseL29bsrmmnt_small_blockdim_kernelILj64ELj8ELj2EliaaiiEEv20rocsparse_direction_T3_S2_llNS_24const_host_device_scalarIT7_EEPKT2_PKS2_PKT4_PKT5_llS5_PT6_ll16rocsparse_order_21rocsparse_index_base_b, .Lfunc_end85-_ZN9rocsparseL29bsrmmnt_small_blockdim_kernelILj64ELj8ELj2EliaaiiEEv20rocsparse_direction_T3_S2_llNS_24const_host_device_scalarIT7_EEPKT2_PKS2_PKT4_PKT5_llS5_PT6_ll16rocsparse_order_21rocsparse_index_base_b
                                        ; -- End function
	.section	.AMDGPU.csdata,"",@progbits
; Kernel info:
; codeLenInByte = 1480
; NumSgprs: 42
; NumVgprs: 43
; NumAgprs: 0
; TotalNumVgprs: 43
; ScratchSize: 0
; MemoryBound: 0
; FloatMode: 240
; IeeeMode: 1
; LDSByteSize: 448 bytes/workgroup (compile time only)
; SGPRBlocks: 5
; VGPRBlocks: 5
; NumSGPRsForWavesPerEU: 42
; NumVGPRsForWavesPerEU: 43
; AccumOffset: 44
; Occupancy: 8
; WaveLimiterHint : 0
; COMPUTE_PGM_RSRC2:SCRATCH_EN: 0
; COMPUTE_PGM_RSRC2:USER_SGPR: 6
; COMPUTE_PGM_RSRC2:TRAP_HANDLER: 0
; COMPUTE_PGM_RSRC2:TGID_X_EN: 1
; COMPUTE_PGM_RSRC2:TGID_Y_EN: 0
; COMPUTE_PGM_RSRC2:TGID_Z_EN: 0
; COMPUTE_PGM_RSRC2:TIDIG_COMP_CNT: 0
; COMPUTE_PGM_RSRC3_GFX90A:ACCUM_OFFSET: 10
; COMPUTE_PGM_RSRC3_GFX90A:TG_SPLIT: 0
	.section	.text._ZN9rocsparseL29bsrmmnt_small_blockdim_kernelILj64ELj16ELj2EliaaiiEEv20rocsparse_direction_T3_S2_llNS_24const_host_device_scalarIT7_EEPKT2_PKS2_PKT4_PKT5_llS5_PT6_ll16rocsparse_order_21rocsparse_index_base_b,"axG",@progbits,_ZN9rocsparseL29bsrmmnt_small_blockdim_kernelILj64ELj16ELj2EliaaiiEEv20rocsparse_direction_T3_S2_llNS_24const_host_device_scalarIT7_EEPKT2_PKS2_PKT4_PKT5_llS5_PT6_ll16rocsparse_order_21rocsparse_index_base_b,comdat
	.globl	_ZN9rocsparseL29bsrmmnt_small_blockdim_kernelILj64ELj16ELj2EliaaiiEEv20rocsparse_direction_T3_S2_llNS_24const_host_device_scalarIT7_EEPKT2_PKS2_PKT4_PKT5_llS5_PT6_ll16rocsparse_order_21rocsparse_index_base_b ; -- Begin function _ZN9rocsparseL29bsrmmnt_small_blockdim_kernelILj64ELj16ELj2EliaaiiEEv20rocsparse_direction_T3_S2_llNS_24const_host_device_scalarIT7_EEPKT2_PKS2_PKT4_PKT5_llS5_PT6_ll16rocsparse_order_21rocsparse_index_base_b
	.p2align	8
	.type	_ZN9rocsparseL29bsrmmnt_small_blockdim_kernelILj64ELj16ELj2EliaaiiEEv20rocsparse_direction_T3_S2_llNS_24const_host_device_scalarIT7_EEPKT2_PKS2_PKT4_PKT5_llS5_PT6_ll16rocsparse_order_21rocsparse_index_base_b,@function
_ZN9rocsparseL29bsrmmnt_small_blockdim_kernelILj64ELj16ELj2EliaaiiEEv20rocsparse_direction_T3_S2_llNS_24const_host_device_scalarIT7_EEPKT2_PKS2_PKT4_PKT5_llS5_PT6_ll16rocsparse_order_21rocsparse_index_base_b: ; @_ZN9rocsparseL29bsrmmnt_small_blockdim_kernelILj64ELj16ELj2EliaaiiEEv20rocsparse_direction_T3_S2_llNS_24const_host_device_scalarIT7_EEPKT2_PKS2_PKT4_PKT5_llS5_PT6_ll16rocsparse_order_21rocsparse_index_base_b
; %bb.0:
	s_load_dwordx4 s[16:19], s[4:5], 0x78
	s_load_dwordx2 s[8:9], s[4:5], 0x20
	s_mov_b64 s[10:11], -1
                                        ; implicit-def: $sgpr28
	s_waitcnt lgkmcnt(0)
	s_bitcmp1_b32 s18, 0
	s_cselect_b64 s[0:1], -1, 0
	s_xor_b64 s[2:3], s[0:1], -1
	s_and_b64 vcc, exec, s[2:3]
	s_cbranch_vccnz .LBB86_4
; %bb.1:
	s_load_dwordx2 s[0:1], s[4:5], 0x58
	s_andn2_b64 vcc, exec, s[10:11]
	s_cbranch_vccz .LBB86_5
.LBB86_2:
	s_and_b64 vcc, exec, s[2:3]
	s_cbranch_vccz .LBB86_6
.LBB86_3:
	s_waitcnt lgkmcnt(0)
	s_load_dword s29, s[0:1], 0x0
	s_cbranch_execz .LBB86_7
	s_branch .LBB86_8
.LBB86_4:
	s_load_dword s28, s[8:9], 0x0
	s_load_dwordx2 s[0:1], s[4:5], 0x58
	s_cbranch_execnz .LBB86_2
.LBB86_5:
	s_waitcnt lgkmcnt(0)
	s_mov_b32 s28, s8
	s_and_b64 vcc, exec, s[2:3]
	s_cbranch_vccnz .LBB86_3
.LBB86_6:
                                        ; implicit-def: $sgpr29
.LBB86_7:
	s_waitcnt lgkmcnt(0)
	s_mov_b32 s29, s0
.LBB86_8:
	s_waitcnt lgkmcnt(0)
	s_cmp_eq_u32 s28, 0
	s_cselect_b64 s[0:1], -1, 0
	s_cmp_eq_u32 s29, 1
	s_cselect_b64 s[2:3], -1, 0
	s_and_b64 s[0:1], s[0:1], s[2:3]
	s_and_b64 vcc, exec, s[0:1]
	s_cbranch_vccnz .LBB86_35
; %bb.9:
	s_load_dword s0, s[4:5], 0x94
	s_load_dwordx4 s[20:23], s[4:5], 0x0
	s_waitcnt lgkmcnt(0)
	s_and_b32 s0, s0, 0xffff
	s_mul_i32 s6, s6, s0
	v_add_u32_e32 v1, s6, v0
	v_lshrrev_b32_e32 v2, 5, v1
	v_cmp_gt_i32_e32 vcc, s21, v2
	s_and_saveexec_b64 s[0:1], vcc
	s_cbranch_execz .LBB86_35
; %bb.10:
	s_cmp_lt_i32 s22, 1
	s_cbranch_scc1 .LBB86_35
; %bb.11:
	s_load_dwordx8 s[8:15], s[4:5], 0x28
	v_lshlrev_b32_e32 v2, 3, v2
	s_cmp_lg_u32 s29, 0
	s_movk_i32 s0, 0x100
	v_lshrrev_b32_e32 v7, 4, v1
	s_waitcnt lgkmcnt(0)
	global_load_dwordx4 v[8:11], v2, s[8:9]
	v_and_b32_e32 v2, 15, v0
	v_lshrrev_b32_e32 v0, 4, v0
	s_load_dwordx4 s[24:27], s[4:5], 0x60
	s_load_dwordx2 s[6:7], s[4:5], 0x48
	s_cselect_b64 s[4:5], -1, 0
	s_cmp_lg_u32 s16, 1
	v_mul_u32_u24_e32 v5, 3, v2
	v_mul_u32_u24_e32 v3, 48, v0
	s_cselect_b64 s[8:9], -1, 0
	s_cmp_eq_u32 s20, 0
	v_add3_u32 v17, v5, v3, s0
	s_cselect_b64 s[0:1], -1, 0
	v_bfe_u32 v4, v1, 4, 1
	v_lshlrev_b32_e32 v1, 6, v0
	v_cndmask_b32_e64 v0, 0, 1, s[0:1]
	s_and_b64 s[0:1], s[0:1], exec
	v_lshlrev_b32_e32 v0, v0, v4
	s_waitcnt lgkmcnt(0)
	v_mad_u64_u32 v[4:5], s[0:1], v7, s26, 0
	v_mov_b32_e32 v6, v5
	v_lshlrev_b32_e32 v12, 2, v7
	v_mad_u64_u32 v[6:7], s[0:1], v7, s27, v[6:7]
	v_mov_b32_e32 v13, s25
	v_add_co_u32_e32 v18, vcc, s24, v12
	v_mov_b32_e32 v5, v6
	v_addc_co_u32_e32 v19, vcc, 0, v13, vcc
	v_lshlrev_b64 v[4:5], 2, v[4:5]
	v_add_co_u32_e32 v20, vcc, s24, v4
	v_addc_co_u32_e32 v21, vcc, v13, v5, vcc
	s_mov_b32 s23, 0
	v_lshl_or_b32 v16, v2, 2, v1
	s_cselect_b32 s16, 1, 2
	s_mov_b32 s30, s6
	s_mov_b32 s31, s7
	;; [unrolled: 1-line block ×3, first 2 shown]
	s_waitcnt vmcnt(0)
	v_subrev_co_u32_e32 v4, vcc, s17, v8
	v_subbrev_co_u32_e32 v5, vcc, 0, v9, vcc
	v_subrev_co_u32_e32 v6, vcc, s17, v10
	v_subbrev_co_u32_e32 v7, vcc, 0, v11, vcc
	v_cmp_lt_i64_e64 s[0:1], v[8:9], v[10:11]
	s_branch .LBB86_13
.LBB86_12:                              ;   in Loop: Header=BB86_13 Depth=1
	s_or_b64 exec, exec, s[2:3]
	s_add_i32 s23, s23, 16
	s_cmp_lt_i32 s23, s22
	s_cbranch_scc0 .LBB86_35
.LBB86_13:                              ; =>This Loop Header: Depth=1
                                        ;     Child Loop BB86_16 Depth 2
                                        ;       Child Loop BB86_20 Depth 3
	v_or_b32_e32 v8, s23, v2
	v_ashrrev_i32_e32 v9, 31, v8
	v_mov_b32_e32 v22, 0
	s_and_saveexec_b64 s[18:19], s[0:1]
	s_cbranch_execz .LBB86_23
; %bb.14:                               ;   in Loop: Header=BB86_13 Depth=1
	v_mov_b32_e32 v11, s15
	v_add_co_u32_e64 v10, s[2:3], s14, v8
	v_cmp_gt_i32_e32 vcc, s22, v8
	v_addc_co_u32_e64 v11, s[2:3], v11, v9, s[2:3]
	s_mov_b64 s[20:21], 0
	v_mov_b32_e32 v22, 0
	v_pk_mov_b32 v[12:13], v[4:5], v[4:5] op_sel:[0,1]
	s_branch .LBB86_16
.LBB86_15:                              ;   in Loop: Header=BB86_16 Depth=2
	s_or_b64 exec, exec, s[2:3]
	v_add_co_u32_e64 v12, s[2:3], 16, v12
	v_addc_co_u32_e64 v13, s[2:3], 0, v13, s[2:3]
	v_cmp_ge_i64_e64 s[2:3], v[12:13], v[6:7]
	s_or_b64 s[20:21], s[2:3], s[20:21]
	s_andn2_b64 exec, exec, s[20:21]
	s_cbranch_execz .LBB86_22
.LBB86_16:                              ;   Parent Loop BB86_13 Depth=1
                                        ; =>  This Loop Header: Depth=2
                                        ;       Child Loop BB86_20 Depth 3
	v_add_co_u32_e64 v14, s[2:3], v12, v2
	v_addc_co_u32_e64 v15, s[2:3], 0, v13, s[2:3]
	v_cmp_lt_i64_e64 s[2:3], v[14:15], v[6:7]
	v_mov_b32_e32 v25, 0
	v_mov_b32_e32 v23, 0
	;; [unrolled: 1-line block ×3, first 2 shown]
	s_and_saveexec_b64 s[24:25], s[2:3]
	s_cbranch_execz .LBB86_18
; %bb.17:                               ;   in Loop: Header=BB86_16 Depth=2
	v_lshlrev_b64 v[14:15], 2, v[14:15]
	v_mov_b32_e32 v23, s11
	v_add_co_u32_e64 v24, s[2:3], s10, v14
	v_addc_co_u32_e64 v25, s[2:3], v23, v15, s[2:3]
	global_load_dword v25, v[24:25], off
	v_or_b32_e32 v24, v14, v0
	v_or_b32_e32 v23, 0, v15
	v_mov_b32_e32 v27, s13
	v_add_co_u32_e64 v14, s[2:3], s12, v24
	v_addc_co_u32_e64 v15, s[2:3], v27, v23, s[2:3]
	v_or_b32_e32 v24, s16, v24
	v_or_b32_e32 v23, 0, v23
	v_add_co_u32_e64 v26, s[2:3], s12, v24
	v_addc_co_u32_e64 v27, s[2:3], v27, v23, s[2:3]
	global_load_ubyte v23, v[14:15], off
	global_load_ubyte v24, v[26:27], off
	s_waitcnt vmcnt(2)
	v_subrev_u32_e32 v14, s17, v25
	v_lshlrev_b32_e32 v25, 1, v14
.LBB86_18:                              ;   in Loop: Header=BB86_16 Depth=2
	s_or_b64 exec, exec, s[24:25]
	ds_write_b32 v16, v25
	s_waitcnt vmcnt(1)
	ds_write_b8 v17, v23
	s_waitcnt vmcnt(0)
	ds_write_b8 v17, v24 offset:1
	s_waitcnt lgkmcnt(0)
	; wave barrier
	s_waitcnt lgkmcnt(0)
	s_and_saveexec_b64 s[2:3], vcc
	s_cbranch_execz .LBB86_15
; %bb.19:                               ;   in Loop: Header=BB86_16 Depth=2
	s_mov_b32 s24, 1
	s_mov_b32 s25, 0
	v_mov_b32_e32 v14, 0
	s_mov_b32 s34, 0
.LBB86_20:                              ;   Parent Loop BB86_13 Depth=1
                                        ;     Parent Loop BB86_16 Depth=2
                                        ; =>    This Inner Loop Header: Depth=3
	v_add_u32_e32 v15, s25, v1
	v_or_b32_e32 v24, 0x100, v3
	v_mad_u64_u32 v[26:27], s[36:37], s34, 3, v[24:25]
	v_mad_u64_u32 v[24:25], s[36:37], s24, 3, v[24:25]
	ds_read_b64 v[28:29], v15
	ds_read_i8 v15, v26
	ds_read_i8 v23, v26 offset:1
	ds_read_i8 v32, v24
	ds_read_i8 v33, v24 offset:1
	s_waitcnt lgkmcnt(4)
	v_ashrrev_i32_e32 v30, 31, v29
	v_add_u32_e32 v36, 1, v29
	v_ashrrev_i32_e32 v31, 31, v28
	v_mul_lo_u32 v34, s7, v28
	v_mad_u64_u32 v[24:25], s[36:37], s6, v28, v[10:11]
	v_mul_lo_u32 v35, s31, v29
	v_mad_u64_u32 v[26:27], s[36:37], s30, v29, v[10:11]
	v_add_u32_e32 v28, 1, v28
	v_mul_lo_u32 v38, s30, v30
	v_ashrrev_i32_e32 v39, 31, v36
	v_mul_lo_u32 v37, s6, v31
	v_ashrrev_i32_e32 v40, 31, v28
	v_mul_lo_u32 v42, s31, v36
	v_mad_u64_u32 v[30:31], s[36:37], s30, v36, v[10:11]
	v_add3_u32 v27, v35, v27, v38
	v_mul_lo_u32 v35, s30, v39
	v_mul_lo_u32 v41, s7, v28
	v_mad_u64_u32 v[28:29], s[36:37], s6, v28, v[10:11]
	v_add3_u32 v25, v34, v25, v37
	v_mul_lo_u32 v34, s6, v40
	v_add3_u32 v31, v42, v31, v35
	global_load_sbyte v36, v[24:25], off
	global_load_sbyte v37, v[26:27], off
	v_add3_u32 v29, v41, v29, v34
	global_load_sbyte v24, v[30:31], off
	global_load_sbyte v25, v[28:29], off
	s_add_i32 s25, s25, 8
	s_add_i32 s34, s34, 2
	;; [unrolled: 1-line block ×3, first 2 shown]
	s_waitcnt lgkmcnt(0)
	v_perm_b32 v26, v33, v32, s33
	v_perm_b32 v15, v23, v15, s33
	s_cmp_lg_u32 s25, 64
	s_waitcnt vmcnt(1)
	v_perm_b32 v23, v24, v37, s33
	s_waitcnt vmcnt(0)
	v_perm_b32 v24, v25, v36, s33
	v_dot4c_i32_i8_e32 v14, v26, v23
	v_dot4c_i32_i8_e32 v22, v15, v24
	s_cbranch_scc1 .LBB86_20
; %bb.21:                               ;   in Loop: Header=BB86_16 Depth=2
	s_nop 1
	v_add_u32_e32 v22, v22, v14
	s_branch .LBB86_15
.LBB86_22:                              ;   in Loop: Header=BB86_13 Depth=1
	s_or_b64 exec, exec, s[20:21]
.LBB86_23:                              ;   in Loop: Header=BB86_13 Depth=1
	s_or_b64 exec, exec, s[18:19]
	v_cmp_gt_i32_e32 vcc, s22, v8
	s_and_saveexec_b64 s[2:3], vcc
	s_cbranch_execz .LBB86_12
; %bb.24:                               ;   in Loop: Header=BB86_13 Depth=1
	s_mov_b64 s[18:19], -1
	s_and_b64 vcc, exec, s[4:5]
	s_cbranch_vccz .LBB86_30
; %bb.25:                               ;   in Loop: Header=BB86_13 Depth=1
	s_and_b64 vcc, exec, s[8:9]
	s_cbranch_vccz .LBB86_27
; %bb.26:                               ;   in Loop: Header=BB86_13 Depth=1
	v_lshlrev_b64 v[10:11], 2, v[8:9]
	v_add_co_u32_e32 v10, vcc, v20, v10
	v_addc_co_u32_e32 v11, vcc, v21, v11, vcc
	global_load_dword v13, v[10:11], off
	v_mul_lo_u32 v12, v22, s28
	s_waitcnt vmcnt(0)
	v_mad_u64_u32 v[12:13], s[18:19], v13, s29, v[12:13]
	global_store_dword v[10:11], v12, off
	s_mov_b64 s[18:19], 0
.LBB86_27:                              ;   in Loop: Header=BB86_13 Depth=1
	s_andn2_b64 vcc, exec, s[18:19]
	s_cbranch_vccnz .LBB86_29
; %bb.28:                               ;   in Loop: Header=BB86_13 Depth=1
	v_mul_lo_u32 v12, v9, s26
	v_mul_lo_u32 v13, v8, s27
	v_mad_u64_u32 v[10:11], s[18:19], v8, s26, 0
	v_add3_u32 v11, v11, v13, v12
	v_lshlrev_b64 v[10:11], 2, v[10:11]
	v_add_co_u32_e32 v10, vcc, v18, v10
	v_addc_co_u32_e32 v11, vcc, v19, v11, vcc
	global_load_dword v13, v[10:11], off
	v_mul_lo_u32 v12, v22, s28
	s_waitcnt vmcnt(0)
	v_mad_u64_u32 v[12:13], s[18:19], v13, s29, v[12:13]
	global_store_dword v[10:11], v12, off
.LBB86_29:                              ;   in Loop: Header=BB86_13 Depth=1
	s_mov_b64 s[18:19], 0
.LBB86_30:                              ;   in Loop: Header=BB86_13 Depth=1
	s_andn2_b64 vcc, exec, s[18:19]
	s_cbranch_vccnz .LBB86_12
; %bb.31:                               ;   in Loop: Header=BB86_13 Depth=1
	v_mul_lo_u32 v10, v22, s28
	s_mov_b64 s[18:19], -1
	s_and_b64 vcc, exec, s[8:9]
	s_cbranch_vccz .LBB86_33
; %bb.32:                               ;   in Loop: Header=BB86_13 Depth=1
	v_lshlrev_b64 v[12:13], 2, v[8:9]
	v_add_co_u32_e32 v12, vcc, v20, v12
	v_addc_co_u32_e32 v13, vcc, v21, v13, vcc
	global_store_dword v[12:13], v10, off
	s_mov_b64 s[18:19], 0
.LBB86_33:                              ;   in Loop: Header=BB86_13 Depth=1
	s_andn2_b64 vcc, exec, s[18:19]
	s_cbranch_vccnz .LBB86_12
; %bb.34:                               ;   in Loop: Header=BB86_13 Depth=1
	v_mul_lo_u32 v11, v9, s26
	v_mul_lo_u32 v12, v8, s27
	v_mad_u64_u32 v[8:9], s[18:19], v8, s26, 0
	v_add3_u32 v9, v9, v12, v11
	v_lshlrev_b64 v[8:9], 2, v[8:9]
	v_add_co_u32_e32 v8, vcc, v18, v8
	v_addc_co_u32_e32 v9, vcc, v19, v9, vcc
	global_store_dword v[8:9], v10, off
	s_branch .LBB86_12
.LBB86_35:
	s_endpgm
	.section	.rodata,"a",@progbits
	.p2align	6, 0x0
	.amdhsa_kernel _ZN9rocsparseL29bsrmmnt_small_blockdim_kernelILj64ELj16ELj2EliaaiiEEv20rocsparse_direction_T3_S2_llNS_24const_host_device_scalarIT7_EEPKT2_PKS2_PKT4_PKT5_llS5_PT6_ll16rocsparse_order_21rocsparse_index_base_b
		.amdhsa_group_segment_fixed_size 448
		.amdhsa_private_segment_fixed_size 0
		.amdhsa_kernarg_size 392
		.amdhsa_user_sgpr_count 6
		.amdhsa_user_sgpr_private_segment_buffer 1
		.amdhsa_user_sgpr_dispatch_ptr 0
		.amdhsa_user_sgpr_queue_ptr 0
		.amdhsa_user_sgpr_kernarg_segment_ptr 1
		.amdhsa_user_sgpr_dispatch_id 0
		.amdhsa_user_sgpr_flat_scratch_init 0
		.amdhsa_user_sgpr_kernarg_preload_length 0
		.amdhsa_user_sgpr_kernarg_preload_offset 0
		.amdhsa_user_sgpr_private_segment_size 0
		.amdhsa_uses_dynamic_stack 0
		.amdhsa_system_sgpr_private_segment_wavefront_offset 0
		.amdhsa_system_sgpr_workgroup_id_x 1
		.amdhsa_system_sgpr_workgroup_id_y 0
		.amdhsa_system_sgpr_workgroup_id_z 0
		.amdhsa_system_sgpr_workgroup_info 0
		.amdhsa_system_vgpr_workitem_id 0
		.amdhsa_next_free_vgpr 43
		.amdhsa_next_free_sgpr 38
		.amdhsa_accum_offset 44
		.amdhsa_reserve_vcc 1
		.amdhsa_reserve_flat_scratch 0
		.amdhsa_float_round_mode_32 0
		.amdhsa_float_round_mode_16_64 0
		.amdhsa_float_denorm_mode_32 3
		.amdhsa_float_denorm_mode_16_64 3
		.amdhsa_dx10_clamp 1
		.amdhsa_ieee_mode 1
		.amdhsa_fp16_overflow 0
		.amdhsa_tg_split 0
		.amdhsa_exception_fp_ieee_invalid_op 0
		.amdhsa_exception_fp_denorm_src 0
		.amdhsa_exception_fp_ieee_div_zero 0
		.amdhsa_exception_fp_ieee_overflow 0
		.amdhsa_exception_fp_ieee_underflow 0
		.amdhsa_exception_fp_ieee_inexact 0
		.amdhsa_exception_int_div_zero 0
	.end_amdhsa_kernel
	.section	.text._ZN9rocsparseL29bsrmmnt_small_blockdim_kernelILj64ELj16ELj2EliaaiiEEv20rocsparse_direction_T3_S2_llNS_24const_host_device_scalarIT7_EEPKT2_PKS2_PKT4_PKT5_llS5_PT6_ll16rocsparse_order_21rocsparse_index_base_b,"axG",@progbits,_ZN9rocsparseL29bsrmmnt_small_blockdim_kernelILj64ELj16ELj2EliaaiiEEv20rocsparse_direction_T3_S2_llNS_24const_host_device_scalarIT7_EEPKT2_PKS2_PKT4_PKT5_llS5_PT6_ll16rocsparse_order_21rocsparse_index_base_b,comdat
.Lfunc_end86:
	.size	_ZN9rocsparseL29bsrmmnt_small_blockdim_kernelILj64ELj16ELj2EliaaiiEEv20rocsparse_direction_T3_S2_llNS_24const_host_device_scalarIT7_EEPKT2_PKS2_PKT4_PKT5_llS5_PT6_ll16rocsparse_order_21rocsparse_index_base_b, .Lfunc_end86-_ZN9rocsparseL29bsrmmnt_small_blockdim_kernelILj64ELj16ELj2EliaaiiEEv20rocsparse_direction_T3_S2_llNS_24const_host_device_scalarIT7_EEPKT2_PKS2_PKT4_PKT5_llS5_PT6_ll16rocsparse_order_21rocsparse_index_base_b
                                        ; -- End function
	.section	.AMDGPU.csdata,"",@progbits
; Kernel info:
; codeLenInByte = 1480
; NumSgprs: 42
; NumVgprs: 43
; NumAgprs: 0
; TotalNumVgprs: 43
; ScratchSize: 0
; MemoryBound: 0
; FloatMode: 240
; IeeeMode: 1
; LDSByteSize: 448 bytes/workgroup (compile time only)
; SGPRBlocks: 5
; VGPRBlocks: 5
; NumSGPRsForWavesPerEU: 42
; NumVGPRsForWavesPerEU: 43
; AccumOffset: 44
; Occupancy: 8
; WaveLimiterHint : 0
; COMPUTE_PGM_RSRC2:SCRATCH_EN: 0
; COMPUTE_PGM_RSRC2:USER_SGPR: 6
; COMPUTE_PGM_RSRC2:TRAP_HANDLER: 0
; COMPUTE_PGM_RSRC2:TGID_X_EN: 1
; COMPUTE_PGM_RSRC2:TGID_Y_EN: 0
; COMPUTE_PGM_RSRC2:TGID_Z_EN: 0
; COMPUTE_PGM_RSRC2:TIDIG_COMP_CNT: 0
; COMPUTE_PGM_RSRC3_GFX90A:ACCUM_OFFSET: 10
; COMPUTE_PGM_RSRC3_GFX90A:TG_SPLIT: 0
	.section	.text._ZN9rocsparseL29bsrmmnt_small_blockdim_kernelILj64ELj32ELj2EliaaiiEEv20rocsparse_direction_T3_S2_llNS_24const_host_device_scalarIT7_EEPKT2_PKS2_PKT4_PKT5_llS5_PT6_ll16rocsparse_order_21rocsparse_index_base_b,"axG",@progbits,_ZN9rocsparseL29bsrmmnt_small_blockdim_kernelILj64ELj32ELj2EliaaiiEEv20rocsparse_direction_T3_S2_llNS_24const_host_device_scalarIT7_EEPKT2_PKS2_PKT4_PKT5_llS5_PT6_ll16rocsparse_order_21rocsparse_index_base_b,comdat
	.globl	_ZN9rocsparseL29bsrmmnt_small_blockdim_kernelILj64ELj32ELj2EliaaiiEEv20rocsparse_direction_T3_S2_llNS_24const_host_device_scalarIT7_EEPKT2_PKS2_PKT4_PKT5_llS5_PT6_ll16rocsparse_order_21rocsparse_index_base_b ; -- Begin function _ZN9rocsparseL29bsrmmnt_small_blockdim_kernelILj64ELj32ELj2EliaaiiEEv20rocsparse_direction_T3_S2_llNS_24const_host_device_scalarIT7_EEPKT2_PKS2_PKT4_PKT5_llS5_PT6_ll16rocsparse_order_21rocsparse_index_base_b
	.p2align	8
	.type	_ZN9rocsparseL29bsrmmnt_small_blockdim_kernelILj64ELj32ELj2EliaaiiEEv20rocsparse_direction_T3_S2_llNS_24const_host_device_scalarIT7_EEPKT2_PKS2_PKT4_PKT5_llS5_PT6_ll16rocsparse_order_21rocsparse_index_base_b,@function
_ZN9rocsparseL29bsrmmnt_small_blockdim_kernelILj64ELj32ELj2EliaaiiEEv20rocsparse_direction_T3_S2_llNS_24const_host_device_scalarIT7_EEPKT2_PKS2_PKT4_PKT5_llS5_PT6_ll16rocsparse_order_21rocsparse_index_base_b: ; @_ZN9rocsparseL29bsrmmnt_small_blockdim_kernelILj64ELj32ELj2EliaaiiEEv20rocsparse_direction_T3_S2_llNS_24const_host_device_scalarIT7_EEPKT2_PKS2_PKT4_PKT5_llS5_PT6_ll16rocsparse_order_21rocsparse_index_base_b
; %bb.0:
	s_load_dwordx4 s[16:19], s[4:5], 0x78
	s_load_dwordx2 s[8:9], s[4:5], 0x20
	s_mov_b64 s[10:11], -1
                                        ; implicit-def: $sgpr28
	s_waitcnt lgkmcnt(0)
	s_bitcmp1_b32 s18, 0
	s_cselect_b64 s[0:1], -1, 0
	s_xor_b64 s[2:3], s[0:1], -1
	s_and_b64 vcc, exec, s[2:3]
	s_cbranch_vccnz .LBB87_4
; %bb.1:
	s_load_dwordx2 s[0:1], s[4:5], 0x58
	s_andn2_b64 vcc, exec, s[10:11]
	s_cbranch_vccz .LBB87_5
.LBB87_2:
	s_and_b64 vcc, exec, s[2:3]
	s_cbranch_vccz .LBB87_6
.LBB87_3:
	s_waitcnt lgkmcnt(0)
	s_load_dword s29, s[0:1], 0x0
	s_cbranch_execz .LBB87_7
	s_branch .LBB87_8
.LBB87_4:
	s_load_dword s28, s[8:9], 0x0
	s_load_dwordx2 s[0:1], s[4:5], 0x58
	s_cbranch_execnz .LBB87_2
.LBB87_5:
	s_waitcnt lgkmcnt(0)
	s_mov_b32 s28, s8
	s_and_b64 vcc, exec, s[2:3]
	s_cbranch_vccnz .LBB87_3
.LBB87_6:
                                        ; implicit-def: $sgpr29
.LBB87_7:
	s_waitcnt lgkmcnt(0)
	s_mov_b32 s29, s0
.LBB87_8:
	s_waitcnt lgkmcnt(0)
	s_cmp_eq_u32 s28, 0
	s_cselect_b64 s[0:1], -1, 0
	s_cmp_eq_u32 s29, 1
	s_cselect_b64 s[2:3], -1, 0
	s_and_b64 s[0:1], s[0:1], s[2:3]
	s_and_b64 vcc, exec, s[0:1]
	s_cbranch_vccnz .LBB87_35
; %bb.9:
	s_load_dword s0, s[4:5], 0x94
	s_load_dwordx4 s[20:23], s[4:5], 0x0
	s_waitcnt lgkmcnt(0)
	s_and_b32 s0, s0, 0xffff
	s_mul_i32 s6, s6, s0
	v_add_u32_e32 v1, s6, v0
	v_lshrrev_b32_e32 v2, 6, v1
	v_cmp_gt_i32_e32 vcc, s21, v2
	s_and_saveexec_b64 s[0:1], vcc
	s_cbranch_execz .LBB87_35
; %bb.10:
	s_cmp_lt_i32 s22, 1
	s_cbranch_scc1 .LBB87_35
; %bb.11:
	s_load_dwordx8 s[8:15], s[4:5], 0x28
	v_lshlrev_b32_e32 v2, 3, v2
	s_cmp_lg_u32 s29, 0
	s_movk_i32 s0, 0x100
	v_lshrrev_b32_e32 v7, 5, v1
	s_waitcnt lgkmcnt(0)
	global_load_dwordx4 v[8:11], v2, s[8:9]
	v_and_b32_e32 v2, 31, v0
	v_lshrrev_b32_e32 v0, 5, v0
	s_load_dwordx4 s[24:27], s[4:5], 0x60
	s_load_dwordx2 s[6:7], s[4:5], 0x48
	s_cselect_b64 s[4:5], -1, 0
	s_cmp_lg_u32 s16, 1
	v_mul_u32_u24_e32 v5, 3, v2
	v_mul_u32_u24_e32 v3, 0x60, v0
	s_cselect_b64 s[8:9], -1, 0
	s_cmp_eq_u32 s20, 0
	v_add3_u32 v17, v5, v3, s0
	s_cselect_b64 s[0:1], -1, 0
	v_bfe_u32 v4, v1, 5, 1
	v_lshlrev_b32_e32 v1, 7, v0
	v_cndmask_b32_e64 v0, 0, 1, s[0:1]
	s_and_b64 s[0:1], s[0:1], exec
	v_lshlrev_b32_e32 v0, v0, v4
	s_waitcnt lgkmcnt(0)
	v_mad_u64_u32 v[4:5], s[0:1], v7, s26, 0
	v_mov_b32_e32 v6, v5
	v_lshlrev_b32_e32 v12, 2, v7
	v_mad_u64_u32 v[6:7], s[0:1], v7, s27, v[6:7]
	v_mov_b32_e32 v13, s25
	v_add_co_u32_e32 v18, vcc, s24, v12
	v_mov_b32_e32 v5, v6
	v_addc_co_u32_e32 v19, vcc, 0, v13, vcc
	v_lshlrev_b64 v[4:5], 2, v[4:5]
	v_add_co_u32_e32 v20, vcc, s24, v4
	v_addc_co_u32_e32 v21, vcc, v13, v5, vcc
	s_mov_b32 s23, 0
	v_lshl_or_b32 v16, v2, 2, v1
	s_cselect_b32 s16, 1, 2
	s_mov_b32 s30, s6
	s_mov_b32 s31, s7
	;; [unrolled: 1-line block ×3, first 2 shown]
	s_waitcnt vmcnt(0)
	v_subrev_co_u32_e32 v4, vcc, s17, v8
	v_subbrev_co_u32_e32 v5, vcc, 0, v9, vcc
	v_subrev_co_u32_e32 v6, vcc, s17, v10
	v_subbrev_co_u32_e32 v7, vcc, 0, v11, vcc
	v_cmp_lt_i64_e64 s[0:1], v[8:9], v[10:11]
	s_branch .LBB87_13
.LBB87_12:                              ;   in Loop: Header=BB87_13 Depth=1
	s_or_b64 exec, exec, s[2:3]
	s_add_i32 s23, s23, 32
	s_cmp_lt_i32 s23, s22
	s_cbranch_scc0 .LBB87_35
.LBB87_13:                              ; =>This Loop Header: Depth=1
                                        ;     Child Loop BB87_16 Depth 2
                                        ;       Child Loop BB87_20 Depth 3
	v_or_b32_e32 v8, s23, v2
	v_ashrrev_i32_e32 v9, 31, v8
	v_mov_b32_e32 v22, 0
	s_and_saveexec_b64 s[18:19], s[0:1]
	s_cbranch_execz .LBB87_23
; %bb.14:                               ;   in Loop: Header=BB87_13 Depth=1
	v_mov_b32_e32 v11, s15
	v_add_co_u32_e64 v10, s[2:3], s14, v8
	v_cmp_gt_i32_e32 vcc, s22, v8
	v_addc_co_u32_e64 v11, s[2:3], v11, v9, s[2:3]
	s_mov_b64 s[20:21], 0
	v_mov_b32_e32 v22, 0
	v_pk_mov_b32 v[12:13], v[4:5], v[4:5] op_sel:[0,1]
	s_branch .LBB87_16
.LBB87_15:                              ;   in Loop: Header=BB87_16 Depth=2
	s_or_b64 exec, exec, s[2:3]
	v_add_co_u32_e64 v12, s[2:3], 32, v12
	v_addc_co_u32_e64 v13, s[2:3], 0, v13, s[2:3]
	v_cmp_ge_i64_e64 s[2:3], v[12:13], v[6:7]
	s_or_b64 s[20:21], s[2:3], s[20:21]
	s_andn2_b64 exec, exec, s[20:21]
	s_cbranch_execz .LBB87_22
.LBB87_16:                              ;   Parent Loop BB87_13 Depth=1
                                        ; =>  This Loop Header: Depth=2
                                        ;       Child Loop BB87_20 Depth 3
	v_add_co_u32_e64 v14, s[2:3], v12, v2
	v_addc_co_u32_e64 v15, s[2:3], 0, v13, s[2:3]
	v_cmp_lt_i64_e64 s[2:3], v[14:15], v[6:7]
	v_mov_b32_e32 v25, 0
	v_mov_b32_e32 v23, 0
	;; [unrolled: 1-line block ×3, first 2 shown]
	s_and_saveexec_b64 s[24:25], s[2:3]
	s_cbranch_execz .LBB87_18
; %bb.17:                               ;   in Loop: Header=BB87_16 Depth=2
	v_lshlrev_b64 v[14:15], 2, v[14:15]
	v_mov_b32_e32 v23, s11
	v_add_co_u32_e64 v24, s[2:3], s10, v14
	v_addc_co_u32_e64 v25, s[2:3], v23, v15, s[2:3]
	global_load_dword v25, v[24:25], off
	v_or_b32_e32 v24, v14, v0
	v_or_b32_e32 v23, 0, v15
	v_mov_b32_e32 v27, s13
	v_add_co_u32_e64 v14, s[2:3], s12, v24
	v_addc_co_u32_e64 v15, s[2:3], v27, v23, s[2:3]
	v_or_b32_e32 v24, s16, v24
	v_or_b32_e32 v23, 0, v23
	v_add_co_u32_e64 v26, s[2:3], s12, v24
	v_addc_co_u32_e64 v27, s[2:3], v27, v23, s[2:3]
	global_load_ubyte v23, v[14:15], off
	global_load_ubyte v24, v[26:27], off
	s_waitcnt vmcnt(2)
	v_subrev_u32_e32 v14, s17, v25
	v_lshlrev_b32_e32 v25, 1, v14
.LBB87_18:                              ;   in Loop: Header=BB87_16 Depth=2
	s_or_b64 exec, exec, s[24:25]
	ds_write_b32 v16, v25
	s_waitcnt vmcnt(1)
	ds_write_b8 v17, v23
	s_waitcnt vmcnt(0)
	ds_write_b8 v17, v24 offset:1
	s_waitcnt lgkmcnt(0)
	; wave barrier
	s_waitcnt lgkmcnt(0)
	s_and_saveexec_b64 s[2:3], vcc
	s_cbranch_execz .LBB87_15
; %bb.19:                               ;   in Loop: Header=BB87_16 Depth=2
	s_mov_b32 s24, 1
	s_mov_b32 s25, 0
	v_mov_b32_e32 v14, 0
	s_mov_b32 s34, 0
.LBB87_20:                              ;   Parent Loop BB87_13 Depth=1
                                        ;     Parent Loop BB87_16 Depth=2
                                        ; =>    This Inner Loop Header: Depth=3
	v_add_u32_e32 v15, s25, v1
	v_or_b32_e32 v24, 0x100, v3
	v_mad_u64_u32 v[26:27], s[36:37], s34, 3, v[24:25]
	v_mad_u64_u32 v[24:25], s[36:37], s24, 3, v[24:25]
	ds_read_b64 v[28:29], v15
	ds_read_i8 v15, v26
	ds_read_i8 v23, v26 offset:1
	ds_read_i8 v32, v24
	ds_read_i8 v33, v24 offset:1
	s_waitcnt lgkmcnt(4)
	v_ashrrev_i32_e32 v30, 31, v29
	v_add_u32_e32 v36, 1, v29
	v_ashrrev_i32_e32 v31, 31, v28
	v_mul_lo_u32 v34, s7, v28
	v_mad_u64_u32 v[24:25], s[36:37], s6, v28, v[10:11]
	v_mul_lo_u32 v35, s31, v29
	v_mad_u64_u32 v[26:27], s[36:37], s30, v29, v[10:11]
	v_add_u32_e32 v28, 1, v28
	v_mul_lo_u32 v38, s30, v30
	v_ashrrev_i32_e32 v39, 31, v36
	v_mul_lo_u32 v37, s6, v31
	v_ashrrev_i32_e32 v40, 31, v28
	v_mul_lo_u32 v42, s31, v36
	v_mad_u64_u32 v[30:31], s[36:37], s30, v36, v[10:11]
	v_add3_u32 v27, v35, v27, v38
	v_mul_lo_u32 v35, s30, v39
	v_mul_lo_u32 v41, s7, v28
	v_mad_u64_u32 v[28:29], s[36:37], s6, v28, v[10:11]
	v_add3_u32 v25, v34, v25, v37
	v_mul_lo_u32 v34, s6, v40
	v_add3_u32 v31, v42, v31, v35
	global_load_sbyte v36, v[24:25], off
	global_load_sbyte v37, v[26:27], off
	v_add3_u32 v29, v41, v29, v34
	global_load_sbyte v24, v[30:31], off
	global_load_sbyte v25, v[28:29], off
	s_add_i32 s25, s25, 8
	s_add_i32 s34, s34, 2
	;; [unrolled: 1-line block ×3, first 2 shown]
	s_waitcnt lgkmcnt(0)
	v_perm_b32 v26, v33, v32, s33
	v_perm_b32 v15, v23, v15, s33
	s_cmpk_lg_i32 s25, 0x80
	s_waitcnt vmcnt(1)
	v_perm_b32 v23, v24, v37, s33
	s_waitcnt vmcnt(0)
	v_perm_b32 v24, v25, v36, s33
	v_dot4c_i32_i8_e32 v14, v26, v23
	v_dot4c_i32_i8_e32 v22, v15, v24
	s_cbranch_scc1 .LBB87_20
; %bb.21:                               ;   in Loop: Header=BB87_16 Depth=2
	s_nop 1
	v_add_u32_e32 v22, v22, v14
	s_branch .LBB87_15
.LBB87_22:                              ;   in Loop: Header=BB87_13 Depth=1
	s_or_b64 exec, exec, s[20:21]
.LBB87_23:                              ;   in Loop: Header=BB87_13 Depth=1
	s_or_b64 exec, exec, s[18:19]
	v_cmp_gt_i32_e32 vcc, s22, v8
	s_and_saveexec_b64 s[2:3], vcc
	s_cbranch_execz .LBB87_12
; %bb.24:                               ;   in Loop: Header=BB87_13 Depth=1
	s_mov_b64 s[18:19], -1
	s_and_b64 vcc, exec, s[4:5]
	s_cbranch_vccz .LBB87_30
; %bb.25:                               ;   in Loop: Header=BB87_13 Depth=1
	s_and_b64 vcc, exec, s[8:9]
	s_cbranch_vccz .LBB87_27
; %bb.26:                               ;   in Loop: Header=BB87_13 Depth=1
	v_lshlrev_b64 v[10:11], 2, v[8:9]
	v_add_co_u32_e32 v10, vcc, v20, v10
	v_addc_co_u32_e32 v11, vcc, v21, v11, vcc
	global_load_dword v13, v[10:11], off
	v_mul_lo_u32 v12, v22, s28
	s_waitcnt vmcnt(0)
	v_mad_u64_u32 v[12:13], s[18:19], v13, s29, v[12:13]
	global_store_dword v[10:11], v12, off
	s_mov_b64 s[18:19], 0
.LBB87_27:                              ;   in Loop: Header=BB87_13 Depth=1
	s_andn2_b64 vcc, exec, s[18:19]
	s_cbranch_vccnz .LBB87_29
; %bb.28:                               ;   in Loop: Header=BB87_13 Depth=1
	v_mul_lo_u32 v12, v9, s26
	v_mul_lo_u32 v13, v8, s27
	v_mad_u64_u32 v[10:11], s[18:19], v8, s26, 0
	v_add3_u32 v11, v11, v13, v12
	v_lshlrev_b64 v[10:11], 2, v[10:11]
	v_add_co_u32_e32 v10, vcc, v18, v10
	v_addc_co_u32_e32 v11, vcc, v19, v11, vcc
	global_load_dword v13, v[10:11], off
	v_mul_lo_u32 v12, v22, s28
	s_waitcnt vmcnt(0)
	v_mad_u64_u32 v[12:13], s[18:19], v13, s29, v[12:13]
	global_store_dword v[10:11], v12, off
.LBB87_29:                              ;   in Loop: Header=BB87_13 Depth=1
	s_mov_b64 s[18:19], 0
.LBB87_30:                              ;   in Loop: Header=BB87_13 Depth=1
	s_andn2_b64 vcc, exec, s[18:19]
	s_cbranch_vccnz .LBB87_12
; %bb.31:                               ;   in Loop: Header=BB87_13 Depth=1
	v_mul_lo_u32 v10, v22, s28
	s_mov_b64 s[18:19], -1
	s_and_b64 vcc, exec, s[8:9]
	s_cbranch_vccz .LBB87_33
; %bb.32:                               ;   in Loop: Header=BB87_13 Depth=1
	v_lshlrev_b64 v[12:13], 2, v[8:9]
	v_add_co_u32_e32 v12, vcc, v20, v12
	v_addc_co_u32_e32 v13, vcc, v21, v13, vcc
	global_store_dword v[12:13], v10, off
	s_mov_b64 s[18:19], 0
.LBB87_33:                              ;   in Loop: Header=BB87_13 Depth=1
	s_andn2_b64 vcc, exec, s[18:19]
	s_cbranch_vccnz .LBB87_12
; %bb.34:                               ;   in Loop: Header=BB87_13 Depth=1
	v_mul_lo_u32 v11, v9, s26
	v_mul_lo_u32 v12, v8, s27
	v_mad_u64_u32 v[8:9], s[18:19], v8, s26, 0
	v_add3_u32 v9, v9, v12, v11
	v_lshlrev_b64 v[8:9], 2, v[8:9]
	v_add_co_u32_e32 v8, vcc, v18, v8
	v_addc_co_u32_e32 v9, vcc, v19, v9, vcc
	global_store_dword v[8:9], v10, off
	s_branch .LBB87_12
.LBB87_35:
	s_endpgm
	.section	.rodata,"a",@progbits
	.p2align	6, 0x0
	.amdhsa_kernel _ZN9rocsparseL29bsrmmnt_small_blockdim_kernelILj64ELj32ELj2EliaaiiEEv20rocsparse_direction_T3_S2_llNS_24const_host_device_scalarIT7_EEPKT2_PKS2_PKT4_PKT5_llS5_PT6_ll16rocsparse_order_21rocsparse_index_base_b
		.amdhsa_group_segment_fixed_size 448
		.amdhsa_private_segment_fixed_size 0
		.amdhsa_kernarg_size 392
		.amdhsa_user_sgpr_count 6
		.amdhsa_user_sgpr_private_segment_buffer 1
		.amdhsa_user_sgpr_dispatch_ptr 0
		.amdhsa_user_sgpr_queue_ptr 0
		.amdhsa_user_sgpr_kernarg_segment_ptr 1
		.amdhsa_user_sgpr_dispatch_id 0
		.amdhsa_user_sgpr_flat_scratch_init 0
		.amdhsa_user_sgpr_kernarg_preload_length 0
		.amdhsa_user_sgpr_kernarg_preload_offset 0
		.amdhsa_user_sgpr_private_segment_size 0
		.amdhsa_uses_dynamic_stack 0
		.amdhsa_system_sgpr_private_segment_wavefront_offset 0
		.amdhsa_system_sgpr_workgroup_id_x 1
		.amdhsa_system_sgpr_workgroup_id_y 0
		.amdhsa_system_sgpr_workgroup_id_z 0
		.amdhsa_system_sgpr_workgroup_info 0
		.amdhsa_system_vgpr_workitem_id 0
		.amdhsa_next_free_vgpr 43
		.amdhsa_next_free_sgpr 38
		.amdhsa_accum_offset 44
		.amdhsa_reserve_vcc 1
		.amdhsa_reserve_flat_scratch 0
		.amdhsa_float_round_mode_32 0
		.amdhsa_float_round_mode_16_64 0
		.amdhsa_float_denorm_mode_32 3
		.amdhsa_float_denorm_mode_16_64 3
		.amdhsa_dx10_clamp 1
		.amdhsa_ieee_mode 1
		.amdhsa_fp16_overflow 0
		.amdhsa_tg_split 0
		.amdhsa_exception_fp_ieee_invalid_op 0
		.amdhsa_exception_fp_denorm_src 0
		.amdhsa_exception_fp_ieee_div_zero 0
		.amdhsa_exception_fp_ieee_overflow 0
		.amdhsa_exception_fp_ieee_underflow 0
		.amdhsa_exception_fp_ieee_inexact 0
		.amdhsa_exception_int_div_zero 0
	.end_amdhsa_kernel
	.section	.text._ZN9rocsparseL29bsrmmnt_small_blockdim_kernelILj64ELj32ELj2EliaaiiEEv20rocsparse_direction_T3_S2_llNS_24const_host_device_scalarIT7_EEPKT2_PKS2_PKT4_PKT5_llS5_PT6_ll16rocsparse_order_21rocsparse_index_base_b,"axG",@progbits,_ZN9rocsparseL29bsrmmnt_small_blockdim_kernelILj64ELj32ELj2EliaaiiEEv20rocsparse_direction_T3_S2_llNS_24const_host_device_scalarIT7_EEPKT2_PKS2_PKT4_PKT5_llS5_PT6_ll16rocsparse_order_21rocsparse_index_base_b,comdat
.Lfunc_end87:
	.size	_ZN9rocsparseL29bsrmmnt_small_blockdim_kernelILj64ELj32ELj2EliaaiiEEv20rocsparse_direction_T3_S2_llNS_24const_host_device_scalarIT7_EEPKT2_PKS2_PKT4_PKT5_llS5_PT6_ll16rocsparse_order_21rocsparse_index_base_b, .Lfunc_end87-_ZN9rocsparseL29bsrmmnt_small_blockdim_kernelILj64ELj32ELj2EliaaiiEEv20rocsparse_direction_T3_S2_llNS_24const_host_device_scalarIT7_EEPKT2_PKS2_PKT4_PKT5_llS5_PT6_ll16rocsparse_order_21rocsparse_index_base_b
                                        ; -- End function
	.section	.AMDGPU.csdata,"",@progbits
; Kernel info:
; codeLenInByte = 1484
; NumSgprs: 42
; NumVgprs: 43
; NumAgprs: 0
; TotalNumVgprs: 43
; ScratchSize: 0
; MemoryBound: 0
; FloatMode: 240
; IeeeMode: 1
; LDSByteSize: 448 bytes/workgroup (compile time only)
; SGPRBlocks: 5
; VGPRBlocks: 5
; NumSGPRsForWavesPerEU: 42
; NumVGPRsForWavesPerEU: 43
; AccumOffset: 44
; Occupancy: 8
; WaveLimiterHint : 0
; COMPUTE_PGM_RSRC2:SCRATCH_EN: 0
; COMPUTE_PGM_RSRC2:USER_SGPR: 6
; COMPUTE_PGM_RSRC2:TRAP_HANDLER: 0
; COMPUTE_PGM_RSRC2:TGID_X_EN: 1
; COMPUTE_PGM_RSRC2:TGID_Y_EN: 0
; COMPUTE_PGM_RSRC2:TGID_Z_EN: 0
; COMPUTE_PGM_RSRC2:TIDIG_COMP_CNT: 0
; COMPUTE_PGM_RSRC3_GFX90A:ACCUM_OFFSET: 10
; COMPUTE_PGM_RSRC3_GFX90A:TG_SPLIT: 0
	.section	.text._ZN9rocsparseL29bsrmmnt_small_blockdim_kernelILj64ELj64ELj2EliaaiiEEv20rocsparse_direction_T3_S2_llNS_24const_host_device_scalarIT7_EEPKT2_PKS2_PKT4_PKT5_llS5_PT6_ll16rocsparse_order_21rocsparse_index_base_b,"axG",@progbits,_ZN9rocsparseL29bsrmmnt_small_blockdim_kernelILj64ELj64ELj2EliaaiiEEv20rocsparse_direction_T3_S2_llNS_24const_host_device_scalarIT7_EEPKT2_PKS2_PKT4_PKT5_llS5_PT6_ll16rocsparse_order_21rocsparse_index_base_b,comdat
	.globl	_ZN9rocsparseL29bsrmmnt_small_blockdim_kernelILj64ELj64ELj2EliaaiiEEv20rocsparse_direction_T3_S2_llNS_24const_host_device_scalarIT7_EEPKT2_PKS2_PKT4_PKT5_llS5_PT6_ll16rocsparse_order_21rocsparse_index_base_b ; -- Begin function _ZN9rocsparseL29bsrmmnt_small_blockdim_kernelILj64ELj64ELj2EliaaiiEEv20rocsparse_direction_T3_S2_llNS_24const_host_device_scalarIT7_EEPKT2_PKS2_PKT4_PKT5_llS5_PT6_ll16rocsparse_order_21rocsparse_index_base_b
	.p2align	8
	.type	_ZN9rocsparseL29bsrmmnt_small_blockdim_kernelILj64ELj64ELj2EliaaiiEEv20rocsparse_direction_T3_S2_llNS_24const_host_device_scalarIT7_EEPKT2_PKS2_PKT4_PKT5_llS5_PT6_ll16rocsparse_order_21rocsparse_index_base_b,@function
_ZN9rocsparseL29bsrmmnt_small_blockdim_kernelILj64ELj64ELj2EliaaiiEEv20rocsparse_direction_T3_S2_llNS_24const_host_device_scalarIT7_EEPKT2_PKS2_PKT4_PKT5_llS5_PT6_ll16rocsparse_order_21rocsparse_index_base_b: ; @_ZN9rocsparseL29bsrmmnt_small_blockdim_kernelILj64ELj64ELj2EliaaiiEEv20rocsparse_direction_T3_S2_llNS_24const_host_device_scalarIT7_EEPKT2_PKS2_PKT4_PKT5_llS5_PT6_ll16rocsparse_order_21rocsparse_index_base_b
; %bb.0:
	s_load_dwordx4 s[16:19], s[4:5], 0x78
	s_load_dwordx2 s[8:9], s[4:5], 0x20
	s_mov_b64 s[10:11], -1
                                        ; implicit-def: $sgpr28
	s_waitcnt lgkmcnt(0)
	s_bitcmp1_b32 s18, 0
	s_cselect_b64 s[0:1], -1, 0
	s_xor_b64 s[2:3], s[0:1], -1
	s_and_b64 vcc, exec, s[2:3]
	s_cbranch_vccnz .LBB88_4
; %bb.1:
	s_load_dwordx2 s[0:1], s[4:5], 0x58
	s_andn2_b64 vcc, exec, s[10:11]
	s_cbranch_vccz .LBB88_5
.LBB88_2:
	s_and_b64 vcc, exec, s[2:3]
	s_cbranch_vccz .LBB88_6
.LBB88_3:
	s_waitcnt lgkmcnt(0)
	s_load_dword s29, s[0:1], 0x0
	s_cbranch_execz .LBB88_7
	s_branch .LBB88_8
.LBB88_4:
	s_load_dword s28, s[8:9], 0x0
	s_load_dwordx2 s[0:1], s[4:5], 0x58
	s_cbranch_execnz .LBB88_2
.LBB88_5:
	s_waitcnt lgkmcnt(0)
	s_mov_b32 s28, s8
	s_and_b64 vcc, exec, s[2:3]
	s_cbranch_vccnz .LBB88_3
.LBB88_6:
                                        ; implicit-def: $sgpr29
.LBB88_7:
	s_waitcnt lgkmcnt(0)
	s_mov_b32 s29, s0
.LBB88_8:
	s_waitcnt lgkmcnt(0)
	s_cmp_eq_u32 s28, 0
	s_cselect_b64 s[0:1], -1, 0
	s_cmp_eq_u32 s29, 1
	s_cselect_b64 s[2:3], -1, 0
	s_and_b64 s[0:1], s[0:1], s[2:3]
	s_and_b64 vcc, exec, s[0:1]
	s_cbranch_vccnz .LBB88_35
; %bb.9:
	s_load_dword s0, s[4:5], 0x94
	s_load_dwordx4 s[20:23], s[4:5], 0x0
	s_waitcnt lgkmcnt(0)
	s_and_b32 s0, s0, 0xffff
	s_mul_i32 s6, s6, s0
	v_add_u32_e32 v1, s6, v0
	v_lshrrev_b32_e32 v2, 7, v1
	v_cmp_gt_i32_e32 vcc, s21, v2
	s_and_saveexec_b64 s[0:1], vcc
	s_cbranch_execz .LBB88_35
; %bb.10:
	s_cmp_lt_i32 s22, 1
	s_cbranch_scc1 .LBB88_35
; %bb.11:
	s_load_dwordx8 s[8:15], s[4:5], 0x28
	v_lshlrev_b32_e32 v2, 3, v2
	s_cmp_lg_u32 s29, 0
	v_lshrrev_b32_e32 v7, 6, v1
	v_lshlrev_b32_e32 v12, 2, v7
	s_waitcnt lgkmcnt(0)
	global_load_dwordx4 v[8:11], v2, s[8:9]
	s_load_dwordx4 s[24:27], s[4:5], 0x60
	s_load_dwordx2 s[6:7], s[4:5], 0x48
	s_cselect_b64 s[4:5], -1, 0
	s_cmp_lg_u32 s16, 1
	s_cselect_b64 s[8:9], -1, 0
	s_cmp_eq_u32 s20, 0
	s_cselect_b64 s[0:1], -1, 0
	v_bfe_u32 v2, v1, 6, 1
	v_cndmask_b32_e64 v4, 0, 1, s[0:1]
	s_and_b64 s[0:1], s[0:1], exec
	v_lshlrev_b32_e32 v2, v4, v2
	s_waitcnt lgkmcnt(0)
	v_mad_u64_u32 v[4:5], s[0:1], v7, s26, 0
	v_mov_b32_e32 v6, v5
	v_mad_u64_u32 v[6:7], s[0:1], v7, s27, v[6:7]
	v_mov_b32_e32 v13, s25
	v_add_co_u32_e32 v16, vcc, s24, v12
	v_mov_b32_e32 v5, v6
	v_addc_co_u32_e32 v17, vcc, 0, v13, vcc
	v_lshlrev_b64 v[4:5], 2, v[4:5]
	v_add_co_u32_e32 v18, vcc, s24, v4
	v_addc_co_u32_e32 v19, vcc, v13, v5, vcc
	v_mul_u32_u24_e32 v3, 3, v0
	s_mov_b32 s23, 0
	v_lshlrev_b32_e32 v1, 2, v0
	v_or_b32_e32 v3, 0x100, v3
	s_cselect_b32 s16, 1, 2
	s_mov_b32 s30, s6
	s_mov_b32 s31, s7
	;; [unrolled: 1-line block ×3, first 2 shown]
	s_waitcnt vmcnt(0)
	v_subrev_co_u32_e32 v4, vcc, s17, v8
	v_subbrev_co_u32_e32 v5, vcc, 0, v9, vcc
	v_subrev_co_u32_e32 v6, vcc, s17, v10
	v_subbrev_co_u32_e32 v7, vcc, 0, v11, vcc
	v_cmp_lt_i64_e64 s[0:1], v[8:9], v[10:11]
	s_branch .LBB88_13
.LBB88_12:                              ;   in Loop: Header=BB88_13 Depth=1
	s_or_b64 exec, exec, s[2:3]
	s_add_i32 s23, s23, 64
	s_cmp_lt_i32 s23, s22
	s_cbranch_scc0 .LBB88_35
.LBB88_13:                              ; =>This Loop Header: Depth=1
                                        ;     Child Loop BB88_16 Depth 2
                                        ;       Child Loop BB88_20 Depth 3
	v_or_b32_e32 v8, s23, v0
	v_ashrrev_i32_e32 v9, 31, v8
	v_mov_b32_e32 v20, 0
	s_and_saveexec_b64 s[18:19], s[0:1]
	s_cbranch_execz .LBB88_23
; %bb.14:                               ;   in Loop: Header=BB88_13 Depth=1
	v_mov_b32_e32 v11, s15
	v_add_co_u32_e64 v10, s[2:3], s14, v8
	v_cmp_gt_i32_e32 vcc, s22, v8
	v_addc_co_u32_e64 v11, s[2:3], v11, v9, s[2:3]
	s_mov_b64 s[20:21], 0
	v_mov_b32_e32 v20, 0
	v_pk_mov_b32 v[12:13], v[4:5], v[4:5] op_sel:[0,1]
	s_branch .LBB88_16
.LBB88_15:                              ;   in Loop: Header=BB88_16 Depth=2
	s_or_b64 exec, exec, s[2:3]
	v_add_co_u32_e64 v12, s[2:3], 64, v12
	v_addc_co_u32_e64 v13, s[2:3], 0, v13, s[2:3]
	v_cmp_ge_i64_e64 s[2:3], v[12:13], v[6:7]
	s_or_b64 s[20:21], s[2:3], s[20:21]
	s_andn2_b64 exec, exec, s[20:21]
	s_cbranch_execz .LBB88_22
.LBB88_16:                              ;   Parent Loop BB88_13 Depth=1
                                        ; =>  This Loop Header: Depth=2
                                        ;       Child Loop BB88_20 Depth 3
	v_add_co_u32_e64 v14, s[2:3], v12, v0
	v_addc_co_u32_e64 v15, s[2:3], 0, v13, s[2:3]
	v_cmp_lt_i64_e64 s[2:3], v[14:15], v[6:7]
	v_mov_b32_e32 v23, 0
	v_mov_b32_e32 v21, 0
	v_mov_b32_e32 v22, 0
	s_and_saveexec_b64 s[24:25], s[2:3]
	s_cbranch_execz .LBB88_18
; %bb.17:                               ;   in Loop: Header=BB88_16 Depth=2
	v_lshlrev_b64 v[14:15], 2, v[14:15]
	v_mov_b32_e32 v21, s11
	v_add_co_u32_e64 v22, s[2:3], s10, v14
	v_addc_co_u32_e64 v23, s[2:3], v21, v15, s[2:3]
	global_load_dword v23, v[22:23], off
	v_or_b32_e32 v22, v14, v2
	v_or_b32_e32 v21, 0, v15
	v_mov_b32_e32 v25, s13
	v_add_co_u32_e64 v14, s[2:3], s12, v22
	v_addc_co_u32_e64 v15, s[2:3], v25, v21, s[2:3]
	v_or_b32_e32 v22, s16, v22
	v_or_b32_e32 v21, 0, v21
	v_add_co_u32_e64 v24, s[2:3], s12, v22
	v_addc_co_u32_e64 v25, s[2:3], v25, v21, s[2:3]
	global_load_ubyte v21, v[14:15], off
	global_load_ubyte v22, v[24:25], off
	s_waitcnt vmcnt(2)
	v_subrev_u32_e32 v14, s17, v23
	v_lshlrev_b32_e32 v23, 1, v14
.LBB88_18:                              ;   in Loop: Header=BB88_16 Depth=2
	s_or_b64 exec, exec, s[24:25]
	ds_write_b32 v1, v23
	s_waitcnt vmcnt(1)
	ds_write_b8 v3, v21
	s_waitcnt vmcnt(0)
	ds_write_b8 v3, v22 offset:1
	s_waitcnt lgkmcnt(0)
	; wave barrier
	s_waitcnt lgkmcnt(0)
	s_and_saveexec_b64 s[2:3], vcc
	s_cbranch_execz .LBB88_15
; %bb.19:                               ;   in Loop: Header=BB88_16 Depth=2
	s_mov_b32 s24, 1
	s_mov_b32 s25, 0
	v_mov_b32_e32 v14, 0
	s_mov_b32 s34, 0
.LBB88_20:                              ;   Parent Loop BB88_13 Depth=1
                                        ;     Parent Loop BB88_16 Depth=2
                                        ; =>    This Inner Loop Header: Depth=3
	s_mul_i32 s36, s34, 3
	v_mov_b32_e32 v15, s25
	s_mul_i32 s35, s24, 3
	v_mov_b32_e32 v21, s36
	v_mov_b32_e32 v24, s35
	ds_read_b64 v[22:23], v15
	ds_read_i8 v15, v21 offset:256
	ds_read_i8 v21, v21 offset:257
	;; [unrolled: 1-line block ×4, first 2 shown]
	s_waitcnt lgkmcnt(4)
	v_readfirstlane_b32 s35, v23
	v_readfirstlane_b32 s36, v22
	s_ashr_i32 s38, s35, 31
	s_ashr_i32 s37, s36, 31
	v_mov_b32_e32 v22, s36
	s_mul_i32 s40, s31, s35
	v_mov_b32_e32 v24, s35
	s_add_i32 s35, s35, 1
	s_mul_i32 s39, s7, s36
	s_add_i32 s41, s36, 1
	s_mul_i32 s42, s6, s37
	v_mad_u64_u32 v[22:23], s[36:37], s6, v22, v[10:11]
	v_mad_u64_u32 v[24:25], s[36:37], s30, v24, v[10:11]
	s_ashr_i32 s43, s35, 31
	s_ashr_i32 s36, s41, 31
	s_mul_i32 s44, s7, s41
	v_mov_b32_e32 v26, s41
	s_mul_i32 s41, s31, s35
	v_mov_b32_e32 v28, s35
	s_add_i32 s42, s42, s39
	s_mul_i32 s39, s30, s43
	s_mul_i32 s38, s30, s38
	s_mul_i32 s35, s6, s36
	v_mad_u64_u32 v[28:29], s[36:37], s30, v28, v[10:11]
	s_add_i32 s39, s39, s41
	s_add_i32 s38, s38, s40
	v_mad_u64_u32 v[26:27], s[36:37], s6, v26, v[10:11]
	v_add_u32_e32 v23, s42, v23
	s_add_i32 s35, s35, s44
	v_add_u32_e32 v29, s39, v29
	v_add_u32_e32 v25, s38, v25
	global_load_sbyte v32, v[22:23], off
	global_load_sbyte v33, v[24:25], off
	v_add_u32_e32 v27, s35, v27
	global_load_sbyte v22, v[28:29], off
	global_load_sbyte v23, v[26:27], off
	s_add_i32 s34, s34, 2
	s_add_i32 s24, s24, 2
	;; [unrolled: 1-line block ×3, first 2 shown]
	s_waitcnt lgkmcnt(0)
	v_perm_b32 v24, v31, v30, s33
	v_perm_b32 v15, v21, v15, s33
	s_cmpk_lg_i32 s25, 0x100
	s_waitcnt vmcnt(1)
	v_perm_b32 v21, v22, v33, s33
	s_waitcnt vmcnt(0)
	v_perm_b32 v22, v23, v32, s33
	v_dot4c_i32_i8_e32 v14, v24, v21
	v_dot4c_i32_i8_e32 v20, v15, v22
	s_cbranch_scc1 .LBB88_20
; %bb.21:                               ;   in Loop: Header=BB88_16 Depth=2
	s_nop 1
	v_add_u32_e32 v20, v20, v14
	s_branch .LBB88_15
.LBB88_22:                              ;   in Loop: Header=BB88_13 Depth=1
	s_or_b64 exec, exec, s[20:21]
.LBB88_23:                              ;   in Loop: Header=BB88_13 Depth=1
	s_or_b64 exec, exec, s[18:19]
	v_cmp_gt_i32_e32 vcc, s22, v8
	s_and_saveexec_b64 s[2:3], vcc
	s_cbranch_execz .LBB88_12
; %bb.24:                               ;   in Loop: Header=BB88_13 Depth=1
	s_mov_b64 s[18:19], -1
	s_and_b64 vcc, exec, s[4:5]
	s_cbranch_vccz .LBB88_30
; %bb.25:                               ;   in Loop: Header=BB88_13 Depth=1
	s_and_b64 vcc, exec, s[8:9]
	s_cbranch_vccz .LBB88_27
; %bb.26:                               ;   in Loop: Header=BB88_13 Depth=1
	v_lshlrev_b64 v[10:11], 2, v[8:9]
	v_add_co_u32_e32 v10, vcc, v18, v10
	v_addc_co_u32_e32 v11, vcc, v19, v11, vcc
	global_load_dword v13, v[10:11], off
	v_mul_lo_u32 v12, v20, s28
	s_waitcnt vmcnt(0)
	v_mad_u64_u32 v[12:13], s[18:19], v13, s29, v[12:13]
	global_store_dword v[10:11], v12, off
	s_mov_b64 s[18:19], 0
.LBB88_27:                              ;   in Loop: Header=BB88_13 Depth=1
	s_andn2_b64 vcc, exec, s[18:19]
	s_cbranch_vccnz .LBB88_29
; %bb.28:                               ;   in Loop: Header=BB88_13 Depth=1
	v_mul_lo_u32 v12, v9, s26
	v_mul_lo_u32 v13, v8, s27
	v_mad_u64_u32 v[10:11], s[18:19], v8, s26, 0
	v_add3_u32 v11, v11, v13, v12
	v_lshlrev_b64 v[10:11], 2, v[10:11]
	v_add_co_u32_e32 v10, vcc, v16, v10
	v_addc_co_u32_e32 v11, vcc, v17, v11, vcc
	global_load_dword v13, v[10:11], off
	v_mul_lo_u32 v12, v20, s28
	s_waitcnt vmcnt(0)
	v_mad_u64_u32 v[12:13], s[18:19], v13, s29, v[12:13]
	global_store_dword v[10:11], v12, off
.LBB88_29:                              ;   in Loop: Header=BB88_13 Depth=1
	s_mov_b64 s[18:19], 0
.LBB88_30:                              ;   in Loop: Header=BB88_13 Depth=1
	s_andn2_b64 vcc, exec, s[18:19]
	s_cbranch_vccnz .LBB88_12
; %bb.31:                               ;   in Loop: Header=BB88_13 Depth=1
	v_mul_lo_u32 v10, v20, s28
	s_mov_b64 s[18:19], -1
	s_and_b64 vcc, exec, s[8:9]
	s_cbranch_vccz .LBB88_33
; %bb.32:                               ;   in Loop: Header=BB88_13 Depth=1
	v_lshlrev_b64 v[12:13], 2, v[8:9]
	v_add_co_u32_e32 v12, vcc, v18, v12
	v_addc_co_u32_e32 v13, vcc, v19, v13, vcc
	global_store_dword v[12:13], v10, off
	s_mov_b64 s[18:19], 0
.LBB88_33:                              ;   in Loop: Header=BB88_13 Depth=1
	s_andn2_b64 vcc, exec, s[18:19]
	s_cbranch_vccnz .LBB88_12
; %bb.34:                               ;   in Loop: Header=BB88_13 Depth=1
	v_mul_lo_u32 v11, v9, s26
	v_mul_lo_u32 v12, v8, s27
	v_mad_u64_u32 v[8:9], s[18:19], v8, s26, 0
	v_add3_u32 v9, v9, v12, v11
	v_lshlrev_b64 v[8:9], 2, v[8:9]
	v_add_co_u32_e32 v8, vcc, v16, v8
	v_addc_co_u32_e32 v9, vcc, v17, v9, vcc
	global_store_dword v[8:9], v10, off
	s_branch .LBB88_12
.LBB88_35:
	s_endpgm
	.section	.rodata,"a",@progbits
	.p2align	6, 0x0
	.amdhsa_kernel _ZN9rocsparseL29bsrmmnt_small_blockdim_kernelILj64ELj64ELj2EliaaiiEEv20rocsparse_direction_T3_S2_llNS_24const_host_device_scalarIT7_EEPKT2_PKS2_PKT4_PKT5_llS5_PT6_ll16rocsparse_order_21rocsparse_index_base_b
		.amdhsa_group_segment_fixed_size 448
		.amdhsa_private_segment_fixed_size 0
		.amdhsa_kernarg_size 392
		.amdhsa_user_sgpr_count 6
		.amdhsa_user_sgpr_private_segment_buffer 1
		.amdhsa_user_sgpr_dispatch_ptr 0
		.amdhsa_user_sgpr_queue_ptr 0
		.amdhsa_user_sgpr_kernarg_segment_ptr 1
		.amdhsa_user_sgpr_dispatch_id 0
		.amdhsa_user_sgpr_flat_scratch_init 0
		.amdhsa_user_sgpr_kernarg_preload_length 0
		.amdhsa_user_sgpr_kernarg_preload_offset 0
		.amdhsa_user_sgpr_private_segment_size 0
		.amdhsa_uses_dynamic_stack 0
		.amdhsa_system_sgpr_private_segment_wavefront_offset 0
		.amdhsa_system_sgpr_workgroup_id_x 1
		.amdhsa_system_sgpr_workgroup_id_y 0
		.amdhsa_system_sgpr_workgroup_id_z 0
		.amdhsa_system_sgpr_workgroup_info 0
		.amdhsa_system_vgpr_workitem_id 0
		.amdhsa_next_free_vgpr 34
		.amdhsa_next_free_sgpr 45
		.amdhsa_accum_offset 36
		.amdhsa_reserve_vcc 1
		.amdhsa_reserve_flat_scratch 0
		.amdhsa_float_round_mode_32 0
		.amdhsa_float_round_mode_16_64 0
		.amdhsa_float_denorm_mode_32 3
		.amdhsa_float_denorm_mode_16_64 3
		.amdhsa_dx10_clamp 1
		.amdhsa_ieee_mode 1
		.amdhsa_fp16_overflow 0
		.amdhsa_tg_split 0
		.amdhsa_exception_fp_ieee_invalid_op 0
		.amdhsa_exception_fp_denorm_src 0
		.amdhsa_exception_fp_ieee_div_zero 0
		.amdhsa_exception_fp_ieee_overflow 0
		.amdhsa_exception_fp_ieee_underflow 0
		.amdhsa_exception_fp_ieee_inexact 0
		.amdhsa_exception_int_div_zero 0
	.end_amdhsa_kernel
	.section	.text._ZN9rocsparseL29bsrmmnt_small_blockdim_kernelILj64ELj64ELj2EliaaiiEEv20rocsparse_direction_T3_S2_llNS_24const_host_device_scalarIT7_EEPKT2_PKS2_PKT4_PKT5_llS5_PT6_ll16rocsparse_order_21rocsparse_index_base_b,"axG",@progbits,_ZN9rocsparseL29bsrmmnt_small_blockdim_kernelILj64ELj64ELj2EliaaiiEEv20rocsparse_direction_T3_S2_llNS_24const_host_device_scalarIT7_EEPKT2_PKS2_PKT4_PKT5_llS5_PT6_ll16rocsparse_order_21rocsparse_index_base_b,comdat
.Lfunc_end88:
	.size	_ZN9rocsparseL29bsrmmnt_small_blockdim_kernelILj64ELj64ELj2EliaaiiEEv20rocsparse_direction_T3_S2_llNS_24const_host_device_scalarIT7_EEPKT2_PKS2_PKT4_PKT5_llS5_PT6_ll16rocsparse_order_21rocsparse_index_base_b, .Lfunc_end88-_ZN9rocsparseL29bsrmmnt_small_blockdim_kernelILj64ELj64ELj2EliaaiiEEv20rocsparse_direction_T3_S2_llNS_24const_host_device_scalarIT7_EEPKT2_PKS2_PKT4_PKT5_llS5_PT6_ll16rocsparse_order_21rocsparse_index_base_b
                                        ; -- End function
	.section	.AMDGPU.csdata,"",@progbits
; Kernel info:
; codeLenInByte = 1440
; NumSgprs: 49
; NumVgprs: 34
; NumAgprs: 0
; TotalNumVgprs: 34
; ScratchSize: 0
; MemoryBound: 0
; FloatMode: 240
; IeeeMode: 1
; LDSByteSize: 448 bytes/workgroup (compile time only)
; SGPRBlocks: 6
; VGPRBlocks: 4
; NumSGPRsForWavesPerEU: 49
; NumVGPRsForWavesPerEU: 34
; AccumOffset: 36
; Occupancy: 8
; WaveLimiterHint : 0
; COMPUTE_PGM_RSRC2:SCRATCH_EN: 0
; COMPUTE_PGM_RSRC2:USER_SGPR: 6
; COMPUTE_PGM_RSRC2:TRAP_HANDLER: 0
; COMPUTE_PGM_RSRC2:TGID_X_EN: 1
; COMPUTE_PGM_RSRC2:TGID_Y_EN: 0
; COMPUTE_PGM_RSRC2:TGID_Z_EN: 0
; COMPUTE_PGM_RSRC2:TIDIG_COMP_CNT: 0
; COMPUTE_PGM_RSRC3_GFX90A:ACCUM_OFFSET: 8
; COMPUTE_PGM_RSRC3_GFX90A:TG_SPLIT: 0
	.section	.text._ZN9rocsparseL29bsrmmnt_small_blockdim_kernelILj64ELj8ELj2EllaaiiEEv20rocsparse_direction_T3_S2_llNS_24const_host_device_scalarIT7_EEPKT2_PKS2_PKT4_PKT5_llS5_PT6_ll16rocsparse_order_21rocsparse_index_base_b,"axG",@progbits,_ZN9rocsparseL29bsrmmnt_small_blockdim_kernelILj64ELj8ELj2EllaaiiEEv20rocsparse_direction_T3_S2_llNS_24const_host_device_scalarIT7_EEPKT2_PKS2_PKT4_PKT5_llS5_PT6_ll16rocsparse_order_21rocsparse_index_base_b,comdat
	.globl	_ZN9rocsparseL29bsrmmnt_small_blockdim_kernelILj64ELj8ELj2EllaaiiEEv20rocsparse_direction_T3_S2_llNS_24const_host_device_scalarIT7_EEPKT2_PKS2_PKT4_PKT5_llS5_PT6_ll16rocsparse_order_21rocsparse_index_base_b ; -- Begin function _ZN9rocsparseL29bsrmmnt_small_blockdim_kernelILj64ELj8ELj2EllaaiiEEv20rocsparse_direction_T3_S2_llNS_24const_host_device_scalarIT7_EEPKT2_PKS2_PKT4_PKT5_llS5_PT6_ll16rocsparse_order_21rocsparse_index_base_b
	.p2align	8
	.type	_ZN9rocsparseL29bsrmmnt_small_blockdim_kernelILj64ELj8ELj2EllaaiiEEv20rocsparse_direction_T3_S2_llNS_24const_host_device_scalarIT7_EEPKT2_PKS2_PKT4_PKT5_llS5_PT6_ll16rocsparse_order_21rocsparse_index_base_b,@function
_ZN9rocsparseL29bsrmmnt_small_blockdim_kernelILj64ELj8ELj2EllaaiiEEv20rocsparse_direction_T3_S2_llNS_24const_host_device_scalarIT7_EEPKT2_PKS2_PKT4_PKT5_llS5_PT6_ll16rocsparse_order_21rocsparse_index_base_b: ; @_ZN9rocsparseL29bsrmmnt_small_blockdim_kernelILj64ELj8ELj2EllaaiiEEv20rocsparse_direction_T3_S2_llNS_24const_host_device_scalarIT7_EEPKT2_PKS2_PKT4_PKT5_llS5_PT6_ll16rocsparse_order_21rocsparse_index_base_b
; %bb.0:
	s_load_dwordx4 s[0:3], s[4:5], 0x80
	s_load_dwordx2 s[10:11], s[4:5], 0x28
	s_mov_b64 s[12:13], -1
                                        ; implicit-def: $sgpr30
	s_waitcnt lgkmcnt(0)
	s_bitcmp1_b32 s2, 0
	s_cselect_b64 s[2:3], -1, 0
	s_xor_b64 s[8:9], s[2:3], -1
	s_and_b64 vcc, exec, s[8:9]
	s_cbranch_vccnz .LBB89_4
; %bb.1:
	s_load_dwordx2 s[2:3], s[4:5], 0x60
	s_andn2_b64 vcc, exec, s[12:13]
	s_cbranch_vccz .LBB89_5
.LBB89_2:
	s_and_b64 vcc, exec, s[8:9]
	s_cbranch_vccz .LBB89_6
.LBB89_3:
	s_waitcnt lgkmcnt(0)
	s_load_dword s31, s[2:3], 0x0
	s_cbranch_execz .LBB89_7
	s_branch .LBB89_8
.LBB89_4:
	s_load_dword s30, s[10:11], 0x0
	s_load_dwordx2 s[2:3], s[4:5], 0x60
	s_cbranch_execnz .LBB89_2
.LBB89_5:
	s_waitcnt lgkmcnt(0)
	s_mov_b32 s30, s10
	s_and_b64 vcc, exec, s[8:9]
	s_cbranch_vccnz .LBB89_3
.LBB89_6:
                                        ; implicit-def: $sgpr31
.LBB89_7:
	s_waitcnt lgkmcnt(0)
	s_mov_b32 s31, s2
.LBB89_8:
	s_waitcnt lgkmcnt(0)
	s_cmp_eq_u32 s30, 0
	s_cselect_b64 s[2:3], -1, 0
	s_cmp_eq_u32 s31, 1
	s_cselect_b64 s[8:9], -1, 0
	s_and_b64 s[2:3], s[2:3], s[8:9]
	s_and_b64 vcc, exec, s[2:3]
	s_cbranch_vccnz .LBB89_34
; %bb.9:
	s_load_dword s2, s[4:5], 0x9c
	s_load_dwordx4 s[16:19], s[4:5], 0x8
	v_mov_b32_e32 v3, 0
	s_waitcnt lgkmcnt(0)
	s_and_b32 s2, s2, 0xffff
	s_mul_i32 s6, s6, s2
	v_add_u32_e32 v1, s6, v0
	v_lshrrev_b32_e32 v2, 4, v1
	v_cmp_gt_i64_e32 vcc, s[16:17], v[2:3]
	s_and_saveexec_b64 s[2:3], vcc
	s_cbranch_execz .LBB89_34
; %bb.10:
	v_cmp_lt_i64_e64 s[2:3], s[18:19], 1
	s_and_b64 vcc, exec, s[2:3]
	s_cbranch_vccnz .LBB89_34
; %bb.11:
	s_load_dwordx8 s[8:15], s[4:5], 0x30
	v_lshlrev_b32_e32 v2, 3, v2
	s_cmp_lg_u32 s31, 0
	v_lshrrev_b32_e32 v12, 3, v1
	s_cselect_b64 s[16:17], -1, 0
	s_waitcnt lgkmcnt(0)
	global_load_dwordx4 v[8:11], v2, s[8:9]
	s_load_dword s2, s[4:5], 0x0
	s_load_dwordx4 s[20:23], s[4:5], 0x68
	s_load_dwordx2 s[6:7], s[4:5], 0x50
	s_cmp_lg_u32 s0, 1
	v_and_b32_e32 v2, 7, v0
	v_lshrrev_b32_e32 v0, 3, v0
	s_cselect_b64 s[24:25], -1, 0
	s_waitcnt lgkmcnt(0)
	s_cmp_eq_u32 s2, 0
	v_mad_u64_u32 v[6:7], s[2:3], v12, s22, 0
	v_bfe_u32 v4, v1, 3, 1
	v_lshlrev_b32_e32 v3, 6, v0
	v_mul_u32_u24_e32 v0, 24, v0
	v_lshlrev_b32_e32 v1, 2, v12
	s_cselect_b64 s[2:3], -1, 0
	v_or_b32_e32 v19, 0x200, v0
	v_mov_b32_e32 v0, v7
	v_add_co_u32_e32 v21, vcc, s20, v1
	v_cndmask_b32_e64 v1, 0, 1, s[2:3]
	v_mad_u64_u32 v[12:13], s[4:5], v12, s23, v[0:1]
	v_mov_b32_e32 v5, 0
	v_mov_b32_e32 v14, s21
	;; [unrolled: 1-line block ×3, first 2 shown]
	v_addc_co_u32_e32 v22, vcc, 0, v14, vcc
	v_lshlrev_b64 v[0:1], v1, v[4:5]
	v_lshlrev_b64 v[4:5], 2, v[6:7]
	v_add_co_u32_e32 v23, vcc, s20, v4
	v_addc_co_u32_e32 v24, vcc, v14, v5, vcc
	s_and_b64 s[2:3], s[2:3], exec
	s_mov_b32 s33, 0
	s_mov_b32 s34, s1
	s_mov_b64 s[8:9], 0
	s_mov_b32 s35, 0xc0c0400
	s_mov_b32 s36, 0x4000c0c
	v_lshl_or_b32 v18, v2, 3, v3
	v_mad_u32_u24 v20, v2, 3, v19
	s_cselect_b32 s37, 1, 2
	s_mov_b32 s38, 0xc0c0100
	s_waitcnt vmcnt(0)
	v_subrev_co_u32_e32 v4, vcc, s1, v8
	v_subbrev_co_u32_e32 v5, vcc, 0, v9, vcc
	v_subrev_co_u32_e32 v6, vcc, s1, v10
	v_subbrev_co_u32_e32 v7, vcc, 0, v11, vcc
	v_cmp_lt_i64_e64 s[0:1], v[8:9], v[10:11]
	s_branch .LBB89_13
.LBB89_12:                              ;   in Loop: Header=BB89_13 Depth=1
	s_or_b64 exec, exec, s[2:3]
	s_add_u32 s8, s8, 8
	s_addc_u32 s9, s9, 0
	v_pk_mov_b32 v[8:9], s[18:19], s[18:19] op_sel:[0,1]
	v_cmp_lt_i64_e32 vcc, s[8:9], v[8:9]
	s_cbranch_vccz .LBB89_34
.LBB89_13:                              ; =>This Loop Header: Depth=1
                                        ;     Child Loop BB89_16 Depth 2
                                        ;       Child Loop BB89_20 Depth 3
	v_or_b32_e64 v9, s9, 0
	v_or_b32_e32 v8, s8, v2
	v_mov_b32_e32 v25, 0
	s_and_saveexec_b64 s[20:21], s[0:1]
	s_cbranch_execz .LBB89_22
; %bb.14:                               ;   in Loop: Header=BB89_13 Depth=1
	v_mov_b32_e32 v11, s15
	v_add_co_u32_e64 v10, s[2:3], s14, v8
	v_cmp_gt_i64_e32 vcc, s[18:19], v[8:9]
	v_addc_co_u32_e64 v11, s[2:3], v11, v9, s[2:3]
	s_mov_b64 s[26:27], 0
	v_mov_b32_e32 v25, 0
	v_pk_mov_b32 v[12:13], v[4:5], v[4:5] op_sel:[0,1]
	s_branch .LBB89_16
.LBB89_15:                              ;   in Loop: Header=BB89_16 Depth=2
	s_or_b64 exec, exec, s[28:29]
	v_add_co_u32_e64 v12, s[2:3], 8, v12
	v_addc_co_u32_e64 v13, s[2:3], 0, v13, s[2:3]
	v_cmp_ge_i64_e64 s[2:3], v[12:13], v[6:7]
	s_or_b64 s[26:27], s[2:3], s[26:27]
	s_andn2_b64 exec, exec, s[26:27]
	s_cbranch_execz .LBB89_21
.LBB89_16:                              ;   Parent Loop BB89_13 Depth=1
                                        ; =>  This Loop Header: Depth=2
                                        ;       Child Loop BB89_20 Depth 3
	v_add_co_u32_e64 v14, s[2:3], v12, v2
	v_addc_co_u32_e64 v15, s[2:3], 0, v13, s[2:3]
	v_cmp_lt_i64_e64 s[2:3], v[14:15], v[6:7]
	v_pk_mov_b32 v[16:17], 0, 0
	v_mov_b32_e32 v26, 0
	v_mov_b32_e32 v27, 0
	s_and_saveexec_b64 s[4:5], s[2:3]
	s_cbranch_execz .LBB89_18
; %bb.17:                               ;   in Loop: Header=BB89_16 Depth=2
	v_lshlrev_b64 v[16:17], 3, v[14:15]
	v_mov_b32_e32 v26, s11
	v_add_co_u32_e64 v16, s[2:3], s10, v16
	v_lshlrev_b64 v[14:15], 2, v[14:15]
	v_addc_co_u32_e64 v17, s[2:3], v26, v17, s[2:3]
	v_or_b32_e32 v27, v14, v0
	global_load_dwordx2 v[16:17], v[16:17], off
	v_or_b32_e32 v26, v15, v1
	v_mov_b32_e32 v29, s13
	v_add_co_u32_e64 v14, s[2:3], s12, v27
	v_addc_co_u32_e64 v15, s[2:3], v29, v26, s[2:3]
	v_or_b32_e32 v27, s37, v27
	v_or_b32_e32 v26, 0, v26
	v_add_co_u32_e64 v28, s[2:3], s12, v27
	v_addc_co_u32_e64 v29, s[2:3], v29, v26, s[2:3]
	global_load_ubyte v26, v[14:15], off
	global_load_ubyte v27, v[28:29], off
	v_mov_b32_e32 v15, s33
	s_waitcnt vmcnt(2)
	v_subrev_co_u32_e64 v14, s[2:3], s34, v16
	v_subb_co_u32_e64 v15, s[2:3], v17, v15, s[2:3]
	v_lshlrev_b64 v[16:17], 1, v[14:15]
.LBB89_18:                              ;   in Loop: Header=BB89_16 Depth=2
	s_or_b64 exec, exec, s[4:5]
	ds_write_b64 v18, v[16:17]
	s_waitcnt vmcnt(1)
	ds_write_b8 v20, v26
	s_waitcnt vmcnt(0)
	ds_write_b8 v20, v27 offset:1
	s_waitcnt lgkmcnt(0)
	; wave barrier
	s_waitcnt lgkmcnt(0)
	s_and_saveexec_b64 s[28:29], vcc
	s_cbranch_execz .LBB89_15
; %bb.19:                               ;   in Loop: Header=BB89_16 Depth=2
	s_mov_b32 s39, 0
	v_mov_b32_e32 v14, v3
.LBB89_20:                              ;   Parent Loop BB89_13 Depth=1
                                        ;     Parent Loop BB89_16 Depth=2
                                        ; =>    This Inner Loop Header: Depth=3
	ds_read_b128 v[26:29], v14
	v_mov_b32_e32 v15, s7
	v_add_u32_e32 v14, 16, v14
	s_waitcnt lgkmcnt(0)
	v_mad_u64_u32 v[16:17], s[2:3], v26, s6, v[10:11]
	v_mul_lo_u32 v30, v26, s7
	v_mul_lo_u32 v31, v27, s6
	v_mad_u64_u32 v[26:27], s[2:3], v28, s6, v[10:11]
	v_mul_lo_u32 v28, v28, s7
	v_mul_lo_u32 v29, v29, s6
	v_add3_u32 v17, v31, v17, v30
	v_add3_u32 v27, v29, v27, v28
	v_add_co_u32_e64 v28, s[2:3], s6, v26
	v_add_co_u32_e64 v30, s[4:5], s6, v16
	v_addc_co_u32_e64 v31, s[4:5], v17, v15, s[4:5]
	v_addc_co_u32_e64 v29, s[2:3], v27, v15, s[2:3]
	global_load_sbyte v15, v[16:17], off
	global_load_sbyte v32, v[26:27], off
	;; [unrolled: 1-line block ×4, first 2 shown]
	v_add_u32_e32 v16, s39, v19
	ds_read_u16 v17, v16
	ds_read_i8 v26, v16 offset:3
	ds_read_i8 v16, v16 offset:4
	s_add_i32 s39, s39, 6
	s_cmp_lg_u32 s39, 24
	s_waitcnt lgkmcnt(2)
	v_perm_b32 v17, v17, v17, s38
	s_waitcnt lgkmcnt(0)
	v_perm_b32 v16, v16, v26, s36
	v_or_b32_e32 v16, v16, v17
	s_waitcnt vmcnt(1)
	v_perm_b32 v15, v33, v15, s35
	s_waitcnt vmcnt(0)
	v_perm_b32 v17, v34, v32, s36
	v_or_b32_e32 v15, v17, v15
	v_dot4c_i32_i8_e32 v25, v16, v15
	s_cbranch_scc1 .LBB89_20
	s_branch .LBB89_15
.LBB89_21:                              ;   in Loop: Header=BB89_13 Depth=1
	s_or_b64 exec, exec, s[26:27]
.LBB89_22:                              ;   in Loop: Header=BB89_13 Depth=1
	s_or_b64 exec, exec, s[20:21]
	v_cmp_gt_i64_e32 vcc, s[18:19], v[8:9]
	s_and_saveexec_b64 s[2:3], vcc
	s_cbranch_execz .LBB89_12
; %bb.23:                               ;   in Loop: Header=BB89_13 Depth=1
	s_mov_b64 s[4:5], -1
	s_and_b64 vcc, exec, s[16:17]
	s_cbranch_vccz .LBB89_29
; %bb.24:                               ;   in Loop: Header=BB89_13 Depth=1
	s_and_b64 vcc, exec, s[24:25]
	s_cbranch_vccz .LBB89_26
; %bb.25:                               ;   in Loop: Header=BB89_13 Depth=1
	v_lshlrev_b64 v[10:11], 2, v[8:9]
	v_add_co_u32_e32 v10, vcc, v23, v10
	v_addc_co_u32_e32 v11, vcc, v24, v11, vcc
	global_load_dword v13, v[10:11], off
	v_mul_lo_u32 v12, v25, s30
	s_waitcnt vmcnt(0)
	v_mad_u64_u32 v[12:13], s[4:5], v13, s31, v[12:13]
	global_store_dword v[10:11], v12, off
	s_mov_b64 s[4:5], 0
.LBB89_26:                              ;   in Loop: Header=BB89_13 Depth=1
	s_andn2_b64 vcc, exec, s[4:5]
	s_cbranch_vccnz .LBB89_28
; %bb.27:                               ;   in Loop: Header=BB89_13 Depth=1
	v_mul_lo_u32 v12, v9, s22
	v_mul_lo_u32 v13, v8, s23
	v_mad_u64_u32 v[10:11], s[4:5], v8, s22, 0
	v_add3_u32 v11, v11, v13, v12
	v_lshlrev_b64 v[10:11], 2, v[10:11]
	v_add_co_u32_e32 v10, vcc, v21, v10
	v_addc_co_u32_e32 v11, vcc, v22, v11, vcc
	global_load_dword v13, v[10:11], off
	v_mul_lo_u32 v12, v25, s30
	s_waitcnt vmcnt(0)
	v_mad_u64_u32 v[12:13], s[4:5], v13, s31, v[12:13]
	global_store_dword v[10:11], v12, off
.LBB89_28:                              ;   in Loop: Header=BB89_13 Depth=1
	s_mov_b64 s[4:5], 0
.LBB89_29:                              ;   in Loop: Header=BB89_13 Depth=1
	s_andn2_b64 vcc, exec, s[4:5]
	s_cbranch_vccnz .LBB89_12
; %bb.30:                               ;   in Loop: Header=BB89_13 Depth=1
	v_mul_lo_u32 v10, v25, s30
	s_mov_b64 s[4:5], -1
	s_and_b64 vcc, exec, s[24:25]
	s_cbranch_vccz .LBB89_32
; %bb.31:                               ;   in Loop: Header=BB89_13 Depth=1
	v_lshlrev_b64 v[12:13], 2, v[8:9]
	v_add_co_u32_e32 v12, vcc, v23, v12
	v_addc_co_u32_e32 v13, vcc, v24, v13, vcc
	global_store_dword v[12:13], v10, off
	s_mov_b64 s[4:5], 0
.LBB89_32:                              ;   in Loop: Header=BB89_13 Depth=1
	s_andn2_b64 vcc, exec, s[4:5]
	s_cbranch_vccnz .LBB89_12
; %bb.33:                               ;   in Loop: Header=BB89_13 Depth=1
	v_mul_lo_u32 v11, v9, s22
	v_mul_lo_u32 v12, v8, s23
	v_mad_u64_u32 v[8:9], s[4:5], v8, s22, 0
	v_add3_u32 v9, v9, v12, v11
	v_lshlrev_b64 v[8:9], 2, v[8:9]
	v_add_co_u32_e32 v8, vcc, v21, v8
	v_addc_co_u32_e32 v9, vcc, v22, v9, vcc
	global_store_dword v[8:9], v10, off
	s_branch .LBB89_12
.LBB89_34:
	s_endpgm
	.section	.rodata,"a",@progbits
	.p2align	6, 0x0
	.amdhsa_kernel _ZN9rocsparseL29bsrmmnt_small_blockdim_kernelILj64ELj8ELj2EllaaiiEEv20rocsparse_direction_T3_S2_llNS_24const_host_device_scalarIT7_EEPKT2_PKS2_PKT4_PKT5_llS5_PT6_ll16rocsparse_order_21rocsparse_index_base_b
		.amdhsa_group_segment_fixed_size 704
		.amdhsa_private_segment_fixed_size 0
		.amdhsa_kernarg_size 400
		.amdhsa_user_sgpr_count 6
		.amdhsa_user_sgpr_private_segment_buffer 1
		.amdhsa_user_sgpr_dispatch_ptr 0
		.amdhsa_user_sgpr_queue_ptr 0
		.amdhsa_user_sgpr_kernarg_segment_ptr 1
		.amdhsa_user_sgpr_dispatch_id 0
		.amdhsa_user_sgpr_flat_scratch_init 0
		.amdhsa_user_sgpr_kernarg_preload_length 0
		.amdhsa_user_sgpr_kernarg_preload_offset 0
		.amdhsa_user_sgpr_private_segment_size 0
		.amdhsa_uses_dynamic_stack 0
		.amdhsa_system_sgpr_private_segment_wavefront_offset 0
		.amdhsa_system_sgpr_workgroup_id_x 1
		.amdhsa_system_sgpr_workgroup_id_y 0
		.amdhsa_system_sgpr_workgroup_id_z 0
		.amdhsa_system_sgpr_workgroup_info 0
		.amdhsa_system_vgpr_workitem_id 0
		.amdhsa_next_free_vgpr 35
		.amdhsa_next_free_sgpr 40
		.amdhsa_accum_offset 36
		.amdhsa_reserve_vcc 1
		.amdhsa_reserve_flat_scratch 0
		.amdhsa_float_round_mode_32 0
		.amdhsa_float_round_mode_16_64 0
		.amdhsa_float_denorm_mode_32 3
		.amdhsa_float_denorm_mode_16_64 3
		.amdhsa_dx10_clamp 1
		.amdhsa_ieee_mode 1
		.amdhsa_fp16_overflow 0
		.amdhsa_tg_split 0
		.amdhsa_exception_fp_ieee_invalid_op 0
		.amdhsa_exception_fp_denorm_src 0
		.amdhsa_exception_fp_ieee_div_zero 0
		.amdhsa_exception_fp_ieee_overflow 0
		.amdhsa_exception_fp_ieee_underflow 0
		.amdhsa_exception_fp_ieee_inexact 0
		.amdhsa_exception_int_div_zero 0
	.end_amdhsa_kernel
	.section	.text._ZN9rocsparseL29bsrmmnt_small_blockdim_kernelILj64ELj8ELj2EllaaiiEEv20rocsparse_direction_T3_S2_llNS_24const_host_device_scalarIT7_EEPKT2_PKS2_PKT4_PKT5_llS5_PT6_ll16rocsparse_order_21rocsparse_index_base_b,"axG",@progbits,_ZN9rocsparseL29bsrmmnt_small_blockdim_kernelILj64ELj8ELj2EllaaiiEEv20rocsparse_direction_T3_S2_llNS_24const_host_device_scalarIT7_EEPKT2_PKS2_PKT4_PKT5_llS5_PT6_ll16rocsparse_order_21rocsparse_index_base_b,comdat
.Lfunc_end89:
	.size	_ZN9rocsparseL29bsrmmnt_small_blockdim_kernelILj64ELj8ELj2EllaaiiEEv20rocsparse_direction_T3_S2_llNS_24const_host_device_scalarIT7_EEPKT2_PKS2_PKT4_PKT5_llS5_PT6_ll16rocsparse_order_21rocsparse_index_base_b, .Lfunc_end89-_ZN9rocsparseL29bsrmmnt_small_blockdim_kernelILj64ELj8ELj2EllaaiiEEv20rocsparse_direction_T3_S2_llNS_24const_host_device_scalarIT7_EEPKT2_PKS2_PKT4_PKT5_llS5_PT6_ll16rocsparse_order_21rocsparse_index_base_b
                                        ; -- End function
	.section	.AMDGPU.csdata,"",@progbits
; Kernel info:
; codeLenInByte = 1476
; NumSgprs: 44
; NumVgprs: 35
; NumAgprs: 0
; TotalNumVgprs: 35
; ScratchSize: 0
; MemoryBound: 0
; FloatMode: 240
; IeeeMode: 1
; LDSByteSize: 704 bytes/workgroup (compile time only)
; SGPRBlocks: 5
; VGPRBlocks: 4
; NumSGPRsForWavesPerEU: 44
; NumVGPRsForWavesPerEU: 35
; AccumOffset: 36
; Occupancy: 8
; WaveLimiterHint : 1
; COMPUTE_PGM_RSRC2:SCRATCH_EN: 0
; COMPUTE_PGM_RSRC2:USER_SGPR: 6
; COMPUTE_PGM_RSRC2:TRAP_HANDLER: 0
; COMPUTE_PGM_RSRC2:TGID_X_EN: 1
; COMPUTE_PGM_RSRC2:TGID_Y_EN: 0
; COMPUTE_PGM_RSRC2:TGID_Z_EN: 0
; COMPUTE_PGM_RSRC2:TIDIG_COMP_CNT: 0
; COMPUTE_PGM_RSRC3_GFX90A:ACCUM_OFFSET: 8
; COMPUTE_PGM_RSRC3_GFX90A:TG_SPLIT: 0
	.section	.text._ZN9rocsparseL29bsrmmnt_small_blockdim_kernelILj64ELj16ELj2EllaaiiEEv20rocsparse_direction_T3_S2_llNS_24const_host_device_scalarIT7_EEPKT2_PKS2_PKT4_PKT5_llS5_PT6_ll16rocsparse_order_21rocsparse_index_base_b,"axG",@progbits,_ZN9rocsparseL29bsrmmnt_small_blockdim_kernelILj64ELj16ELj2EllaaiiEEv20rocsparse_direction_T3_S2_llNS_24const_host_device_scalarIT7_EEPKT2_PKS2_PKT4_PKT5_llS5_PT6_ll16rocsparse_order_21rocsparse_index_base_b,comdat
	.globl	_ZN9rocsparseL29bsrmmnt_small_blockdim_kernelILj64ELj16ELj2EllaaiiEEv20rocsparse_direction_T3_S2_llNS_24const_host_device_scalarIT7_EEPKT2_PKS2_PKT4_PKT5_llS5_PT6_ll16rocsparse_order_21rocsparse_index_base_b ; -- Begin function _ZN9rocsparseL29bsrmmnt_small_blockdim_kernelILj64ELj16ELj2EllaaiiEEv20rocsparse_direction_T3_S2_llNS_24const_host_device_scalarIT7_EEPKT2_PKS2_PKT4_PKT5_llS5_PT6_ll16rocsparse_order_21rocsparse_index_base_b
	.p2align	8
	.type	_ZN9rocsparseL29bsrmmnt_small_blockdim_kernelILj64ELj16ELj2EllaaiiEEv20rocsparse_direction_T3_S2_llNS_24const_host_device_scalarIT7_EEPKT2_PKS2_PKT4_PKT5_llS5_PT6_ll16rocsparse_order_21rocsparse_index_base_b,@function
_ZN9rocsparseL29bsrmmnt_small_blockdim_kernelILj64ELj16ELj2EllaaiiEEv20rocsparse_direction_T3_S2_llNS_24const_host_device_scalarIT7_EEPKT2_PKS2_PKT4_PKT5_llS5_PT6_ll16rocsparse_order_21rocsparse_index_base_b: ; @_ZN9rocsparseL29bsrmmnt_small_blockdim_kernelILj64ELj16ELj2EllaaiiEEv20rocsparse_direction_T3_S2_llNS_24const_host_device_scalarIT7_EEPKT2_PKS2_PKT4_PKT5_llS5_PT6_ll16rocsparse_order_21rocsparse_index_base_b
; %bb.0:
	s_load_dwordx4 s[0:3], s[4:5], 0x80
	s_load_dwordx2 s[10:11], s[4:5], 0x28
	s_mov_b64 s[12:13], -1
                                        ; implicit-def: $sgpr30
	s_waitcnt lgkmcnt(0)
	s_bitcmp1_b32 s2, 0
	s_cselect_b64 s[2:3], -1, 0
	s_xor_b64 s[8:9], s[2:3], -1
	s_and_b64 vcc, exec, s[8:9]
	s_cbranch_vccnz .LBB90_4
; %bb.1:
	s_load_dwordx2 s[2:3], s[4:5], 0x60
	s_andn2_b64 vcc, exec, s[12:13]
	s_cbranch_vccz .LBB90_5
.LBB90_2:
	s_and_b64 vcc, exec, s[8:9]
	s_cbranch_vccz .LBB90_6
.LBB90_3:
	s_waitcnt lgkmcnt(0)
	s_load_dword s31, s[2:3], 0x0
	s_cbranch_execz .LBB90_7
	s_branch .LBB90_8
.LBB90_4:
	s_load_dword s30, s[10:11], 0x0
	s_load_dwordx2 s[2:3], s[4:5], 0x60
	s_cbranch_execnz .LBB90_2
.LBB90_5:
	s_waitcnt lgkmcnt(0)
	s_mov_b32 s30, s10
	s_and_b64 vcc, exec, s[8:9]
	s_cbranch_vccnz .LBB90_3
.LBB90_6:
                                        ; implicit-def: $sgpr31
.LBB90_7:
	s_waitcnt lgkmcnt(0)
	s_mov_b32 s31, s2
.LBB90_8:
	s_waitcnt lgkmcnt(0)
	s_cmp_eq_u32 s30, 0
	s_cselect_b64 s[2:3], -1, 0
	s_cmp_eq_u32 s31, 1
	s_cselect_b64 s[8:9], -1, 0
	s_and_b64 s[2:3], s[2:3], s[8:9]
	s_and_b64 vcc, exec, s[2:3]
	s_cbranch_vccnz .LBB90_34
; %bb.9:
	s_load_dword s2, s[4:5], 0x9c
	s_load_dwordx4 s[16:19], s[4:5], 0x8
	v_mov_b32_e32 v3, 0
	s_waitcnt lgkmcnt(0)
	s_and_b32 s2, s2, 0xffff
	s_mul_i32 s6, s6, s2
	v_add_u32_e32 v1, s6, v0
	v_lshrrev_b32_e32 v2, 5, v1
	v_cmp_gt_i64_e32 vcc, s[16:17], v[2:3]
	s_and_saveexec_b64 s[2:3], vcc
	s_cbranch_execz .LBB90_34
; %bb.10:
	v_cmp_lt_i64_e64 s[2:3], s[18:19], 1
	s_and_b64 vcc, exec, s[2:3]
	s_cbranch_vccnz .LBB90_34
; %bb.11:
	s_load_dwordx8 s[8:15], s[4:5], 0x30
	v_lshlrev_b32_e32 v2, 3, v2
	s_cmp_lg_u32 s31, 0
	v_lshrrev_b32_e32 v12, 4, v1
	s_cselect_b64 s[16:17], -1, 0
	s_waitcnt lgkmcnt(0)
	global_load_dwordx4 v[8:11], v2, s[8:9]
	s_load_dword s2, s[4:5], 0x0
	s_load_dwordx4 s[20:23], s[4:5], 0x68
	s_load_dwordx2 s[6:7], s[4:5], 0x50
	s_cmp_lg_u32 s0, 1
	v_and_b32_e32 v2, 15, v0
	v_lshrrev_b32_e32 v0, 4, v0
	s_cselect_b64 s[24:25], -1, 0
	s_waitcnt lgkmcnt(0)
	s_cmp_eq_u32 s2, 0
	v_mad_u64_u32 v[6:7], s[2:3], v12, s22, 0
	v_bfe_u32 v4, v1, 4, 1
	v_lshlrev_b32_e32 v3, 7, v0
	v_mul_u32_u24_e32 v0, 48, v0
	v_lshlrev_b32_e32 v1, 2, v12
	s_cselect_b64 s[2:3], -1, 0
	v_or_b32_e32 v19, 0x200, v0
	v_mov_b32_e32 v0, v7
	v_add_co_u32_e32 v21, vcc, s20, v1
	v_cndmask_b32_e64 v1, 0, 1, s[2:3]
	v_mad_u64_u32 v[12:13], s[4:5], v12, s23, v[0:1]
	v_mov_b32_e32 v5, 0
	v_mov_b32_e32 v14, s21
	;; [unrolled: 1-line block ×3, first 2 shown]
	v_addc_co_u32_e32 v22, vcc, 0, v14, vcc
	v_lshlrev_b64 v[0:1], v1, v[4:5]
	v_lshlrev_b64 v[4:5], 2, v[6:7]
	v_add_co_u32_e32 v23, vcc, s20, v4
	v_addc_co_u32_e32 v24, vcc, v14, v5, vcc
	s_and_b64 s[2:3], s[2:3], exec
	s_mov_b32 s33, 0
	s_mov_b32 s34, s1
	s_mov_b64 s[8:9], 0
	s_mov_b32 s35, 0xc0c0400
	s_mov_b32 s36, 0x4000c0c
	v_lshl_or_b32 v18, v2, 3, v3
	v_mad_u32_u24 v20, v2, 3, v19
	s_cselect_b32 s37, 1, 2
	s_mov_b32 s38, 0xc0c0100
	s_waitcnt vmcnt(0)
	v_subrev_co_u32_e32 v4, vcc, s1, v8
	v_subbrev_co_u32_e32 v5, vcc, 0, v9, vcc
	v_subrev_co_u32_e32 v6, vcc, s1, v10
	v_subbrev_co_u32_e32 v7, vcc, 0, v11, vcc
	v_cmp_lt_i64_e64 s[0:1], v[8:9], v[10:11]
	s_branch .LBB90_13
.LBB90_12:                              ;   in Loop: Header=BB90_13 Depth=1
	s_or_b64 exec, exec, s[2:3]
	s_add_u32 s8, s8, 16
	s_addc_u32 s9, s9, 0
	v_pk_mov_b32 v[8:9], s[18:19], s[18:19] op_sel:[0,1]
	v_cmp_lt_i64_e32 vcc, s[8:9], v[8:9]
	s_cbranch_vccz .LBB90_34
.LBB90_13:                              ; =>This Loop Header: Depth=1
                                        ;     Child Loop BB90_16 Depth 2
                                        ;       Child Loop BB90_20 Depth 3
	v_or_b32_e64 v9, s9, 0
	v_or_b32_e32 v8, s8, v2
	v_mov_b32_e32 v25, 0
	s_and_saveexec_b64 s[20:21], s[0:1]
	s_cbranch_execz .LBB90_22
; %bb.14:                               ;   in Loop: Header=BB90_13 Depth=1
	v_mov_b32_e32 v11, s15
	v_add_co_u32_e64 v10, s[2:3], s14, v8
	v_cmp_gt_i64_e32 vcc, s[18:19], v[8:9]
	v_addc_co_u32_e64 v11, s[2:3], v11, v9, s[2:3]
	s_mov_b64 s[26:27], 0
	v_mov_b32_e32 v25, 0
	v_pk_mov_b32 v[12:13], v[4:5], v[4:5] op_sel:[0,1]
	s_branch .LBB90_16
.LBB90_15:                              ;   in Loop: Header=BB90_16 Depth=2
	s_or_b64 exec, exec, s[28:29]
	v_add_co_u32_e64 v12, s[2:3], 16, v12
	v_addc_co_u32_e64 v13, s[2:3], 0, v13, s[2:3]
	v_cmp_ge_i64_e64 s[2:3], v[12:13], v[6:7]
	s_or_b64 s[26:27], s[2:3], s[26:27]
	s_andn2_b64 exec, exec, s[26:27]
	s_cbranch_execz .LBB90_21
.LBB90_16:                              ;   Parent Loop BB90_13 Depth=1
                                        ; =>  This Loop Header: Depth=2
                                        ;       Child Loop BB90_20 Depth 3
	v_add_co_u32_e64 v14, s[2:3], v12, v2
	v_addc_co_u32_e64 v15, s[2:3], 0, v13, s[2:3]
	v_cmp_lt_i64_e64 s[2:3], v[14:15], v[6:7]
	v_pk_mov_b32 v[16:17], 0, 0
	v_mov_b32_e32 v26, 0
	v_mov_b32_e32 v27, 0
	s_and_saveexec_b64 s[4:5], s[2:3]
	s_cbranch_execz .LBB90_18
; %bb.17:                               ;   in Loop: Header=BB90_16 Depth=2
	v_lshlrev_b64 v[16:17], 3, v[14:15]
	v_mov_b32_e32 v26, s11
	v_add_co_u32_e64 v16, s[2:3], s10, v16
	v_lshlrev_b64 v[14:15], 2, v[14:15]
	v_addc_co_u32_e64 v17, s[2:3], v26, v17, s[2:3]
	v_or_b32_e32 v27, v14, v0
	global_load_dwordx2 v[16:17], v[16:17], off
	v_or_b32_e32 v26, v15, v1
	v_mov_b32_e32 v29, s13
	v_add_co_u32_e64 v14, s[2:3], s12, v27
	v_addc_co_u32_e64 v15, s[2:3], v29, v26, s[2:3]
	v_or_b32_e32 v27, s37, v27
	v_or_b32_e32 v26, 0, v26
	v_add_co_u32_e64 v28, s[2:3], s12, v27
	v_addc_co_u32_e64 v29, s[2:3], v29, v26, s[2:3]
	global_load_ubyte v26, v[14:15], off
	global_load_ubyte v27, v[28:29], off
	v_mov_b32_e32 v15, s33
	s_waitcnt vmcnt(2)
	v_subrev_co_u32_e64 v14, s[2:3], s34, v16
	v_subb_co_u32_e64 v15, s[2:3], v17, v15, s[2:3]
	v_lshlrev_b64 v[16:17], 1, v[14:15]
.LBB90_18:                              ;   in Loop: Header=BB90_16 Depth=2
	s_or_b64 exec, exec, s[4:5]
	ds_write_b64 v18, v[16:17]
	s_waitcnt vmcnt(1)
	ds_write_b8 v20, v26
	s_waitcnt vmcnt(0)
	ds_write_b8 v20, v27 offset:1
	s_waitcnt lgkmcnt(0)
	; wave barrier
	s_waitcnt lgkmcnt(0)
	s_and_saveexec_b64 s[28:29], vcc
	s_cbranch_execz .LBB90_15
; %bb.19:                               ;   in Loop: Header=BB90_16 Depth=2
	s_mov_b32 s39, 0
	v_mov_b32_e32 v14, v3
.LBB90_20:                              ;   Parent Loop BB90_13 Depth=1
                                        ;     Parent Loop BB90_16 Depth=2
                                        ; =>    This Inner Loop Header: Depth=3
	ds_read_b128 v[26:29], v14
	v_mov_b32_e32 v15, s7
	v_add_u32_e32 v14, 16, v14
	s_waitcnt lgkmcnt(0)
	v_mad_u64_u32 v[16:17], s[2:3], v26, s6, v[10:11]
	v_mul_lo_u32 v30, v26, s7
	v_mul_lo_u32 v31, v27, s6
	v_mad_u64_u32 v[26:27], s[2:3], v28, s6, v[10:11]
	v_mul_lo_u32 v28, v28, s7
	v_mul_lo_u32 v29, v29, s6
	v_add3_u32 v17, v31, v17, v30
	v_add3_u32 v27, v29, v27, v28
	v_add_co_u32_e64 v28, s[2:3], s6, v26
	v_add_co_u32_e64 v30, s[4:5], s6, v16
	v_addc_co_u32_e64 v31, s[4:5], v17, v15, s[4:5]
	v_addc_co_u32_e64 v29, s[2:3], v27, v15, s[2:3]
	global_load_sbyte v15, v[16:17], off
	global_load_sbyte v32, v[26:27], off
	;; [unrolled: 1-line block ×4, first 2 shown]
	v_add_u32_e32 v16, s39, v19
	ds_read_u16 v17, v16
	ds_read_i8 v26, v16 offset:3
	ds_read_i8 v16, v16 offset:4
	s_add_i32 s39, s39, 6
	s_cmp_lg_u32 s39, 48
	s_waitcnt lgkmcnt(2)
	v_perm_b32 v17, v17, v17, s38
	s_waitcnt lgkmcnt(0)
	v_perm_b32 v16, v16, v26, s36
	v_or_b32_e32 v16, v16, v17
	s_waitcnt vmcnt(1)
	v_perm_b32 v15, v33, v15, s35
	s_waitcnt vmcnt(0)
	v_perm_b32 v17, v34, v32, s36
	v_or_b32_e32 v15, v17, v15
	v_dot4c_i32_i8_e32 v25, v16, v15
	s_cbranch_scc1 .LBB90_20
	s_branch .LBB90_15
.LBB90_21:                              ;   in Loop: Header=BB90_13 Depth=1
	s_or_b64 exec, exec, s[26:27]
.LBB90_22:                              ;   in Loop: Header=BB90_13 Depth=1
	s_or_b64 exec, exec, s[20:21]
	v_cmp_gt_i64_e32 vcc, s[18:19], v[8:9]
	s_and_saveexec_b64 s[2:3], vcc
	s_cbranch_execz .LBB90_12
; %bb.23:                               ;   in Loop: Header=BB90_13 Depth=1
	s_mov_b64 s[4:5], -1
	s_and_b64 vcc, exec, s[16:17]
	s_cbranch_vccz .LBB90_29
; %bb.24:                               ;   in Loop: Header=BB90_13 Depth=1
	s_and_b64 vcc, exec, s[24:25]
	s_cbranch_vccz .LBB90_26
; %bb.25:                               ;   in Loop: Header=BB90_13 Depth=1
	v_lshlrev_b64 v[10:11], 2, v[8:9]
	v_add_co_u32_e32 v10, vcc, v23, v10
	v_addc_co_u32_e32 v11, vcc, v24, v11, vcc
	global_load_dword v13, v[10:11], off
	v_mul_lo_u32 v12, v25, s30
	s_waitcnt vmcnt(0)
	v_mad_u64_u32 v[12:13], s[4:5], v13, s31, v[12:13]
	global_store_dword v[10:11], v12, off
	s_mov_b64 s[4:5], 0
.LBB90_26:                              ;   in Loop: Header=BB90_13 Depth=1
	s_andn2_b64 vcc, exec, s[4:5]
	s_cbranch_vccnz .LBB90_28
; %bb.27:                               ;   in Loop: Header=BB90_13 Depth=1
	v_mul_lo_u32 v12, v9, s22
	v_mul_lo_u32 v13, v8, s23
	v_mad_u64_u32 v[10:11], s[4:5], v8, s22, 0
	v_add3_u32 v11, v11, v13, v12
	v_lshlrev_b64 v[10:11], 2, v[10:11]
	v_add_co_u32_e32 v10, vcc, v21, v10
	v_addc_co_u32_e32 v11, vcc, v22, v11, vcc
	global_load_dword v13, v[10:11], off
	v_mul_lo_u32 v12, v25, s30
	s_waitcnt vmcnt(0)
	v_mad_u64_u32 v[12:13], s[4:5], v13, s31, v[12:13]
	global_store_dword v[10:11], v12, off
.LBB90_28:                              ;   in Loop: Header=BB90_13 Depth=1
	s_mov_b64 s[4:5], 0
.LBB90_29:                              ;   in Loop: Header=BB90_13 Depth=1
	s_andn2_b64 vcc, exec, s[4:5]
	s_cbranch_vccnz .LBB90_12
; %bb.30:                               ;   in Loop: Header=BB90_13 Depth=1
	v_mul_lo_u32 v10, v25, s30
	s_mov_b64 s[4:5], -1
	s_and_b64 vcc, exec, s[24:25]
	s_cbranch_vccz .LBB90_32
; %bb.31:                               ;   in Loop: Header=BB90_13 Depth=1
	v_lshlrev_b64 v[12:13], 2, v[8:9]
	v_add_co_u32_e32 v12, vcc, v23, v12
	v_addc_co_u32_e32 v13, vcc, v24, v13, vcc
	global_store_dword v[12:13], v10, off
	s_mov_b64 s[4:5], 0
.LBB90_32:                              ;   in Loop: Header=BB90_13 Depth=1
	s_andn2_b64 vcc, exec, s[4:5]
	s_cbranch_vccnz .LBB90_12
; %bb.33:                               ;   in Loop: Header=BB90_13 Depth=1
	v_mul_lo_u32 v11, v9, s22
	v_mul_lo_u32 v12, v8, s23
	v_mad_u64_u32 v[8:9], s[4:5], v8, s22, 0
	v_add3_u32 v9, v9, v12, v11
	v_lshlrev_b64 v[8:9], 2, v[8:9]
	v_add_co_u32_e32 v8, vcc, v21, v8
	v_addc_co_u32_e32 v9, vcc, v22, v9, vcc
	global_store_dword v[8:9], v10, off
	s_branch .LBB90_12
.LBB90_34:
	s_endpgm
	.section	.rodata,"a",@progbits
	.p2align	6, 0x0
	.amdhsa_kernel _ZN9rocsparseL29bsrmmnt_small_blockdim_kernelILj64ELj16ELj2EllaaiiEEv20rocsparse_direction_T3_S2_llNS_24const_host_device_scalarIT7_EEPKT2_PKS2_PKT4_PKT5_llS5_PT6_ll16rocsparse_order_21rocsparse_index_base_b
		.amdhsa_group_segment_fixed_size 704
		.amdhsa_private_segment_fixed_size 0
		.amdhsa_kernarg_size 400
		.amdhsa_user_sgpr_count 6
		.amdhsa_user_sgpr_private_segment_buffer 1
		.amdhsa_user_sgpr_dispatch_ptr 0
		.amdhsa_user_sgpr_queue_ptr 0
		.amdhsa_user_sgpr_kernarg_segment_ptr 1
		.amdhsa_user_sgpr_dispatch_id 0
		.amdhsa_user_sgpr_flat_scratch_init 0
		.amdhsa_user_sgpr_kernarg_preload_length 0
		.amdhsa_user_sgpr_kernarg_preload_offset 0
		.amdhsa_user_sgpr_private_segment_size 0
		.amdhsa_uses_dynamic_stack 0
		.amdhsa_system_sgpr_private_segment_wavefront_offset 0
		.amdhsa_system_sgpr_workgroup_id_x 1
		.amdhsa_system_sgpr_workgroup_id_y 0
		.amdhsa_system_sgpr_workgroup_id_z 0
		.amdhsa_system_sgpr_workgroup_info 0
		.amdhsa_system_vgpr_workitem_id 0
		.amdhsa_next_free_vgpr 35
		.amdhsa_next_free_sgpr 40
		.amdhsa_accum_offset 36
		.amdhsa_reserve_vcc 1
		.amdhsa_reserve_flat_scratch 0
		.amdhsa_float_round_mode_32 0
		.amdhsa_float_round_mode_16_64 0
		.amdhsa_float_denorm_mode_32 3
		.amdhsa_float_denorm_mode_16_64 3
		.amdhsa_dx10_clamp 1
		.amdhsa_ieee_mode 1
		.amdhsa_fp16_overflow 0
		.amdhsa_tg_split 0
		.amdhsa_exception_fp_ieee_invalid_op 0
		.amdhsa_exception_fp_denorm_src 0
		.amdhsa_exception_fp_ieee_div_zero 0
		.amdhsa_exception_fp_ieee_overflow 0
		.amdhsa_exception_fp_ieee_underflow 0
		.amdhsa_exception_fp_ieee_inexact 0
		.amdhsa_exception_int_div_zero 0
	.end_amdhsa_kernel
	.section	.text._ZN9rocsparseL29bsrmmnt_small_blockdim_kernelILj64ELj16ELj2EllaaiiEEv20rocsparse_direction_T3_S2_llNS_24const_host_device_scalarIT7_EEPKT2_PKS2_PKT4_PKT5_llS5_PT6_ll16rocsparse_order_21rocsparse_index_base_b,"axG",@progbits,_ZN9rocsparseL29bsrmmnt_small_blockdim_kernelILj64ELj16ELj2EllaaiiEEv20rocsparse_direction_T3_S2_llNS_24const_host_device_scalarIT7_EEPKT2_PKS2_PKT4_PKT5_llS5_PT6_ll16rocsparse_order_21rocsparse_index_base_b,comdat
.Lfunc_end90:
	.size	_ZN9rocsparseL29bsrmmnt_small_blockdim_kernelILj64ELj16ELj2EllaaiiEEv20rocsparse_direction_T3_S2_llNS_24const_host_device_scalarIT7_EEPKT2_PKS2_PKT4_PKT5_llS5_PT6_ll16rocsparse_order_21rocsparse_index_base_b, .Lfunc_end90-_ZN9rocsparseL29bsrmmnt_small_blockdim_kernelILj64ELj16ELj2EllaaiiEEv20rocsparse_direction_T3_S2_llNS_24const_host_device_scalarIT7_EEPKT2_PKS2_PKT4_PKT5_llS5_PT6_ll16rocsparse_order_21rocsparse_index_base_b
                                        ; -- End function
	.section	.AMDGPU.csdata,"",@progbits
; Kernel info:
; codeLenInByte = 1476
; NumSgprs: 44
; NumVgprs: 35
; NumAgprs: 0
; TotalNumVgprs: 35
; ScratchSize: 0
; MemoryBound: 0
; FloatMode: 240
; IeeeMode: 1
; LDSByteSize: 704 bytes/workgroup (compile time only)
; SGPRBlocks: 5
; VGPRBlocks: 4
; NumSGPRsForWavesPerEU: 44
; NumVGPRsForWavesPerEU: 35
; AccumOffset: 36
; Occupancy: 8
; WaveLimiterHint : 1
; COMPUTE_PGM_RSRC2:SCRATCH_EN: 0
; COMPUTE_PGM_RSRC2:USER_SGPR: 6
; COMPUTE_PGM_RSRC2:TRAP_HANDLER: 0
; COMPUTE_PGM_RSRC2:TGID_X_EN: 1
; COMPUTE_PGM_RSRC2:TGID_Y_EN: 0
; COMPUTE_PGM_RSRC2:TGID_Z_EN: 0
; COMPUTE_PGM_RSRC2:TIDIG_COMP_CNT: 0
; COMPUTE_PGM_RSRC3_GFX90A:ACCUM_OFFSET: 8
; COMPUTE_PGM_RSRC3_GFX90A:TG_SPLIT: 0
	.section	.text._ZN9rocsparseL29bsrmmnt_small_blockdim_kernelILj64ELj32ELj2EllaaiiEEv20rocsparse_direction_T3_S2_llNS_24const_host_device_scalarIT7_EEPKT2_PKS2_PKT4_PKT5_llS5_PT6_ll16rocsparse_order_21rocsparse_index_base_b,"axG",@progbits,_ZN9rocsparseL29bsrmmnt_small_blockdim_kernelILj64ELj32ELj2EllaaiiEEv20rocsparse_direction_T3_S2_llNS_24const_host_device_scalarIT7_EEPKT2_PKS2_PKT4_PKT5_llS5_PT6_ll16rocsparse_order_21rocsparse_index_base_b,comdat
	.globl	_ZN9rocsparseL29bsrmmnt_small_blockdim_kernelILj64ELj32ELj2EllaaiiEEv20rocsparse_direction_T3_S2_llNS_24const_host_device_scalarIT7_EEPKT2_PKS2_PKT4_PKT5_llS5_PT6_ll16rocsparse_order_21rocsparse_index_base_b ; -- Begin function _ZN9rocsparseL29bsrmmnt_small_blockdim_kernelILj64ELj32ELj2EllaaiiEEv20rocsparse_direction_T3_S2_llNS_24const_host_device_scalarIT7_EEPKT2_PKS2_PKT4_PKT5_llS5_PT6_ll16rocsparse_order_21rocsparse_index_base_b
	.p2align	8
	.type	_ZN9rocsparseL29bsrmmnt_small_blockdim_kernelILj64ELj32ELj2EllaaiiEEv20rocsparse_direction_T3_S2_llNS_24const_host_device_scalarIT7_EEPKT2_PKS2_PKT4_PKT5_llS5_PT6_ll16rocsparse_order_21rocsparse_index_base_b,@function
_ZN9rocsparseL29bsrmmnt_small_blockdim_kernelILj64ELj32ELj2EllaaiiEEv20rocsparse_direction_T3_S2_llNS_24const_host_device_scalarIT7_EEPKT2_PKS2_PKT4_PKT5_llS5_PT6_ll16rocsparse_order_21rocsparse_index_base_b: ; @_ZN9rocsparseL29bsrmmnt_small_blockdim_kernelILj64ELj32ELj2EllaaiiEEv20rocsparse_direction_T3_S2_llNS_24const_host_device_scalarIT7_EEPKT2_PKS2_PKT4_PKT5_llS5_PT6_ll16rocsparse_order_21rocsparse_index_base_b
; %bb.0:
	s_load_dwordx4 s[0:3], s[4:5], 0x80
	s_load_dwordx2 s[10:11], s[4:5], 0x28
	s_mov_b64 s[12:13], -1
                                        ; implicit-def: $sgpr30
	s_waitcnt lgkmcnt(0)
	s_bitcmp1_b32 s2, 0
	s_cselect_b64 s[2:3], -1, 0
	s_xor_b64 s[8:9], s[2:3], -1
	s_and_b64 vcc, exec, s[8:9]
	s_cbranch_vccnz .LBB91_4
; %bb.1:
	s_load_dwordx2 s[2:3], s[4:5], 0x60
	s_andn2_b64 vcc, exec, s[12:13]
	s_cbranch_vccz .LBB91_5
.LBB91_2:
	s_and_b64 vcc, exec, s[8:9]
	s_cbranch_vccz .LBB91_6
.LBB91_3:
	s_waitcnt lgkmcnt(0)
	s_load_dword s31, s[2:3], 0x0
	s_cbranch_execz .LBB91_7
	s_branch .LBB91_8
.LBB91_4:
	s_load_dword s30, s[10:11], 0x0
	s_load_dwordx2 s[2:3], s[4:5], 0x60
	s_cbranch_execnz .LBB91_2
.LBB91_5:
	s_waitcnt lgkmcnt(0)
	s_mov_b32 s30, s10
	s_and_b64 vcc, exec, s[8:9]
	s_cbranch_vccnz .LBB91_3
.LBB91_6:
                                        ; implicit-def: $sgpr31
.LBB91_7:
	s_waitcnt lgkmcnt(0)
	s_mov_b32 s31, s2
.LBB91_8:
	s_waitcnt lgkmcnt(0)
	s_cmp_eq_u32 s30, 0
	s_cselect_b64 s[2:3], -1, 0
	s_cmp_eq_u32 s31, 1
	s_cselect_b64 s[8:9], -1, 0
	s_and_b64 s[2:3], s[2:3], s[8:9]
	s_and_b64 vcc, exec, s[2:3]
	s_cbranch_vccnz .LBB91_34
; %bb.9:
	s_load_dword s2, s[4:5], 0x9c
	s_load_dwordx4 s[16:19], s[4:5], 0x8
	v_mov_b32_e32 v3, 0
	s_waitcnt lgkmcnt(0)
	s_and_b32 s2, s2, 0xffff
	s_mul_i32 s6, s6, s2
	v_add_u32_e32 v1, s6, v0
	v_lshrrev_b32_e32 v2, 6, v1
	v_cmp_gt_i64_e32 vcc, s[16:17], v[2:3]
	s_and_saveexec_b64 s[2:3], vcc
	s_cbranch_execz .LBB91_34
; %bb.10:
	v_cmp_lt_i64_e64 s[2:3], s[18:19], 1
	s_and_b64 vcc, exec, s[2:3]
	s_cbranch_vccnz .LBB91_34
; %bb.11:
	s_load_dwordx8 s[8:15], s[4:5], 0x30
	v_lshlrev_b32_e32 v2, 3, v2
	s_cmp_lg_u32 s31, 0
	v_lshrrev_b32_e32 v12, 5, v1
	s_cselect_b64 s[16:17], -1, 0
	s_waitcnt lgkmcnt(0)
	global_load_dwordx4 v[8:11], v2, s[8:9]
	s_load_dword s2, s[4:5], 0x0
	s_load_dwordx4 s[20:23], s[4:5], 0x68
	s_load_dwordx2 s[6:7], s[4:5], 0x50
	s_cmp_lg_u32 s0, 1
	v_and_b32_e32 v2, 31, v0
	v_lshrrev_b32_e32 v0, 5, v0
	s_cselect_b64 s[24:25], -1, 0
	s_waitcnt lgkmcnt(0)
	s_cmp_eq_u32 s2, 0
	v_mad_u64_u32 v[6:7], s[2:3], v12, s22, 0
	v_bfe_u32 v4, v1, 5, 1
	v_lshlrev_b32_e32 v3, 8, v0
	v_mul_u32_u24_e32 v0, 0x60, v0
	v_lshlrev_b32_e32 v1, 2, v12
	s_cselect_b64 s[2:3], -1, 0
	v_or_b32_e32 v19, 0x200, v0
	v_mov_b32_e32 v0, v7
	v_add_co_u32_e32 v21, vcc, s20, v1
	v_cndmask_b32_e64 v1, 0, 1, s[2:3]
	v_mad_u64_u32 v[12:13], s[4:5], v12, s23, v[0:1]
	v_mov_b32_e32 v5, 0
	v_mov_b32_e32 v14, s21
	;; [unrolled: 1-line block ×3, first 2 shown]
	v_addc_co_u32_e32 v22, vcc, 0, v14, vcc
	v_lshlrev_b64 v[0:1], v1, v[4:5]
	v_lshlrev_b64 v[4:5], 2, v[6:7]
	v_add_co_u32_e32 v23, vcc, s20, v4
	v_addc_co_u32_e32 v24, vcc, v14, v5, vcc
	s_and_b64 s[2:3], s[2:3], exec
	s_mov_b32 s33, 0
	s_mov_b32 s34, s1
	s_mov_b64 s[8:9], 0
	s_mov_b32 s35, 0xc0c0400
	s_mov_b32 s36, 0x4000c0c
	v_lshl_or_b32 v18, v2, 3, v3
	v_mad_u32_u24 v20, v2, 3, v19
	s_cselect_b32 s37, 1, 2
	s_mov_b32 s38, 0xc0c0100
	s_waitcnt vmcnt(0)
	v_subrev_co_u32_e32 v4, vcc, s1, v8
	v_subbrev_co_u32_e32 v5, vcc, 0, v9, vcc
	v_subrev_co_u32_e32 v6, vcc, s1, v10
	v_subbrev_co_u32_e32 v7, vcc, 0, v11, vcc
	v_cmp_lt_i64_e64 s[0:1], v[8:9], v[10:11]
	s_branch .LBB91_13
.LBB91_12:                              ;   in Loop: Header=BB91_13 Depth=1
	s_or_b64 exec, exec, s[2:3]
	s_add_u32 s8, s8, 32
	s_addc_u32 s9, s9, 0
	v_pk_mov_b32 v[8:9], s[18:19], s[18:19] op_sel:[0,1]
	v_cmp_lt_i64_e32 vcc, s[8:9], v[8:9]
	s_cbranch_vccz .LBB91_34
.LBB91_13:                              ; =>This Loop Header: Depth=1
                                        ;     Child Loop BB91_16 Depth 2
                                        ;       Child Loop BB91_20 Depth 3
	v_or_b32_e64 v9, s9, 0
	v_or_b32_e32 v8, s8, v2
	v_mov_b32_e32 v25, 0
	s_and_saveexec_b64 s[20:21], s[0:1]
	s_cbranch_execz .LBB91_22
; %bb.14:                               ;   in Loop: Header=BB91_13 Depth=1
	v_mov_b32_e32 v11, s15
	v_add_co_u32_e64 v10, s[2:3], s14, v8
	v_cmp_gt_i64_e32 vcc, s[18:19], v[8:9]
	v_addc_co_u32_e64 v11, s[2:3], v11, v9, s[2:3]
	s_mov_b64 s[26:27], 0
	v_mov_b32_e32 v25, 0
	v_pk_mov_b32 v[12:13], v[4:5], v[4:5] op_sel:[0,1]
	s_branch .LBB91_16
.LBB91_15:                              ;   in Loop: Header=BB91_16 Depth=2
	s_or_b64 exec, exec, s[28:29]
	v_add_co_u32_e64 v12, s[2:3], 32, v12
	v_addc_co_u32_e64 v13, s[2:3], 0, v13, s[2:3]
	v_cmp_ge_i64_e64 s[2:3], v[12:13], v[6:7]
	s_or_b64 s[26:27], s[2:3], s[26:27]
	s_andn2_b64 exec, exec, s[26:27]
	s_cbranch_execz .LBB91_21
.LBB91_16:                              ;   Parent Loop BB91_13 Depth=1
                                        ; =>  This Loop Header: Depth=2
                                        ;       Child Loop BB91_20 Depth 3
	v_add_co_u32_e64 v14, s[2:3], v12, v2
	v_addc_co_u32_e64 v15, s[2:3], 0, v13, s[2:3]
	v_cmp_lt_i64_e64 s[2:3], v[14:15], v[6:7]
	v_pk_mov_b32 v[16:17], 0, 0
	v_mov_b32_e32 v26, 0
	v_mov_b32_e32 v27, 0
	s_and_saveexec_b64 s[4:5], s[2:3]
	s_cbranch_execz .LBB91_18
; %bb.17:                               ;   in Loop: Header=BB91_16 Depth=2
	v_lshlrev_b64 v[16:17], 3, v[14:15]
	v_mov_b32_e32 v26, s11
	v_add_co_u32_e64 v16, s[2:3], s10, v16
	v_lshlrev_b64 v[14:15], 2, v[14:15]
	v_addc_co_u32_e64 v17, s[2:3], v26, v17, s[2:3]
	v_or_b32_e32 v27, v14, v0
	global_load_dwordx2 v[16:17], v[16:17], off
	v_or_b32_e32 v26, v15, v1
	v_mov_b32_e32 v29, s13
	v_add_co_u32_e64 v14, s[2:3], s12, v27
	v_addc_co_u32_e64 v15, s[2:3], v29, v26, s[2:3]
	v_or_b32_e32 v27, s37, v27
	v_or_b32_e32 v26, 0, v26
	v_add_co_u32_e64 v28, s[2:3], s12, v27
	v_addc_co_u32_e64 v29, s[2:3], v29, v26, s[2:3]
	global_load_ubyte v26, v[14:15], off
	global_load_ubyte v27, v[28:29], off
	v_mov_b32_e32 v15, s33
	s_waitcnt vmcnt(2)
	v_subrev_co_u32_e64 v14, s[2:3], s34, v16
	v_subb_co_u32_e64 v15, s[2:3], v17, v15, s[2:3]
	v_lshlrev_b64 v[16:17], 1, v[14:15]
.LBB91_18:                              ;   in Loop: Header=BB91_16 Depth=2
	s_or_b64 exec, exec, s[4:5]
	ds_write_b64 v18, v[16:17]
	s_waitcnt vmcnt(1)
	ds_write_b8 v20, v26
	s_waitcnt vmcnt(0)
	ds_write_b8 v20, v27 offset:1
	s_waitcnt lgkmcnt(0)
	; wave barrier
	s_waitcnt lgkmcnt(0)
	s_and_saveexec_b64 s[28:29], vcc
	s_cbranch_execz .LBB91_15
; %bb.19:                               ;   in Loop: Header=BB91_16 Depth=2
	s_mov_b32 s39, 0
	v_mov_b32_e32 v14, v3
.LBB91_20:                              ;   Parent Loop BB91_13 Depth=1
                                        ;     Parent Loop BB91_16 Depth=2
                                        ; =>    This Inner Loop Header: Depth=3
	ds_read_b128 v[26:29], v14
	v_mov_b32_e32 v15, s7
	v_add_u32_e32 v14, 16, v14
	s_waitcnt lgkmcnt(0)
	v_mad_u64_u32 v[16:17], s[2:3], v26, s6, v[10:11]
	v_mul_lo_u32 v30, v26, s7
	v_mul_lo_u32 v31, v27, s6
	v_mad_u64_u32 v[26:27], s[2:3], v28, s6, v[10:11]
	v_mul_lo_u32 v28, v28, s7
	v_mul_lo_u32 v29, v29, s6
	v_add3_u32 v17, v31, v17, v30
	v_add3_u32 v27, v29, v27, v28
	v_add_co_u32_e64 v28, s[2:3], s6, v26
	v_add_co_u32_e64 v30, s[4:5], s6, v16
	v_addc_co_u32_e64 v31, s[4:5], v17, v15, s[4:5]
	v_addc_co_u32_e64 v29, s[2:3], v27, v15, s[2:3]
	global_load_sbyte v15, v[16:17], off
	global_load_sbyte v32, v[26:27], off
	;; [unrolled: 1-line block ×4, first 2 shown]
	v_add_u32_e32 v16, s39, v19
	ds_read_u16 v17, v16
	ds_read_i8 v26, v16 offset:3
	ds_read_i8 v16, v16 offset:4
	s_add_i32 s39, s39, 6
	s_cmpk_lg_i32 s39, 0x60
	s_waitcnt lgkmcnt(2)
	v_perm_b32 v17, v17, v17, s38
	s_waitcnt lgkmcnt(0)
	v_perm_b32 v16, v16, v26, s36
	v_or_b32_e32 v16, v16, v17
	s_waitcnt vmcnt(1)
	v_perm_b32 v15, v33, v15, s35
	s_waitcnt vmcnt(0)
	v_perm_b32 v17, v34, v32, s36
	v_or_b32_e32 v15, v17, v15
	v_dot4c_i32_i8_e32 v25, v16, v15
	s_cbranch_scc1 .LBB91_20
	s_branch .LBB91_15
.LBB91_21:                              ;   in Loop: Header=BB91_13 Depth=1
	s_or_b64 exec, exec, s[26:27]
.LBB91_22:                              ;   in Loop: Header=BB91_13 Depth=1
	s_or_b64 exec, exec, s[20:21]
	v_cmp_gt_i64_e32 vcc, s[18:19], v[8:9]
	s_and_saveexec_b64 s[2:3], vcc
	s_cbranch_execz .LBB91_12
; %bb.23:                               ;   in Loop: Header=BB91_13 Depth=1
	s_mov_b64 s[4:5], -1
	s_and_b64 vcc, exec, s[16:17]
	s_cbranch_vccz .LBB91_29
; %bb.24:                               ;   in Loop: Header=BB91_13 Depth=1
	s_and_b64 vcc, exec, s[24:25]
	s_cbranch_vccz .LBB91_26
; %bb.25:                               ;   in Loop: Header=BB91_13 Depth=1
	v_lshlrev_b64 v[10:11], 2, v[8:9]
	v_add_co_u32_e32 v10, vcc, v23, v10
	v_addc_co_u32_e32 v11, vcc, v24, v11, vcc
	global_load_dword v13, v[10:11], off
	v_mul_lo_u32 v12, v25, s30
	s_waitcnt vmcnt(0)
	v_mad_u64_u32 v[12:13], s[4:5], v13, s31, v[12:13]
	global_store_dword v[10:11], v12, off
	s_mov_b64 s[4:5], 0
.LBB91_26:                              ;   in Loop: Header=BB91_13 Depth=1
	s_andn2_b64 vcc, exec, s[4:5]
	s_cbranch_vccnz .LBB91_28
; %bb.27:                               ;   in Loop: Header=BB91_13 Depth=1
	v_mul_lo_u32 v12, v9, s22
	v_mul_lo_u32 v13, v8, s23
	v_mad_u64_u32 v[10:11], s[4:5], v8, s22, 0
	v_add3_u32 v11, v11, v13, v12
	v_lshlrev_b64 v[10:11], 2, v[10:11]
	v_add_co_u32_e32 v10, vcc, v21, v10
	v_addc_co_u32_e32 v11, vcc, v22, v11, vcc
	global_load_dword v13, v[10:11], off
	v_mul_lo_u32 v12, v25, s30
	s_waitcnt vmcnt(0)
	v_mad_u64_u32 v[12:13], s[4:5], v13, s31, v[12:13]
	global_store_dword v[10:11], v12, off
.LBB91_28:                              ;   in Loop: Header=BB91_13 Depth=1
	s_mov_b64 s[4:5], 0
.LBB91_29:                              ;   in Loop: Header=BB91_13 Depth=1
	s_andn2_b64 vcc, exec, s[4:5]
	s_cbranch_vccnz .LBB91_12
; %bb.30:                               ;   in Loop: Header=BB91_13 Depth=1
	v_mul_lo_u32 v10, v25, s30
	s_mov_b64 s[4:5], -1
	s_and_b64 vcc, exec, s[24:25]
	s_cbranch_vccz .LBB91_32
; %bb.31:                               ;   in Loop: Header=BB91_13 Depth=1
	v_lshlrev_b64 v[12:13], 2, v[8:9]
	v_add_co_u32_e32 v12, vcc, v23, v12
	v_addc_co_u32_e32 v13, vcc, v24, v13, vcc
	global_store_dword v[12:13], v10, off
	s_mov_b64 s[4:5], 0
.LBB91_32:                              ;   in Loop: Header=BB91_13 Depth=1
	s_andn2_b64 vcc, exec, s[4:5]
	s_cbranch_vccnz .LBB91_12
; %bb.33:                               ;   in Loop: Header=BB91_13 Depth=1
	v_mul_lo_u32 v11, v9, s22
	v_mul_lo_u32 v12, v8, s23
	v_mad_u64_u32 v[8:9], s[4:5], v8, s22, 0
	v_add3_u32 v9, v9, v12, v11
	v_lshlrev_b64 v[8:9], 2, v[8:9]
	v_add_co_u32_e32 v8, vcc, v21, v8
	v_addc_co_u32_e32 v9, vcc, v22, v9, vcc
	global_store_dword v[8:9], v10, off
	s_branch .LBB91_12
.LBB91_34:
	s_endpgm
	.section	.rodata,"a",@progbits
	.p2align	6, 0x0
	.amdhsa_kernel _ZN9rocsparseL29bsrmmnt_small_blockdim_kernelILj64ELj32ELj2EllaaiiEEv20rocsparse_direction_T3_S2_llNS_24const_host_device_scalarIT7_EEPKT2_PKS2_PKT4_PKT5_llS5_PT6_ll16rocsparse_order_21rocsparse_index_base_b
		.amdhsa_group_segment_fixed_size 704
		.amdhsa_private_segment_fixed_size 0
		.amdhsa_kernarg_size 400
		.amdhsa_user_sgpr_count 6
		.amdhsa_user_sgpr_private_segment_buffer 1
		.amdhsa_user_sgpr_dispatch_ptr 0
		.amdhsa_user_sgpr_queue_ptr 0
		.amdhsa_user_sgpr_kernarg_segment_ptr 1
		.amdhsa_user_sgpr_dispatch_id 0
		.amdhsa_user_sgpr_flat_scratch_init 0
		.amdhsa_user_sgpr_kernarg_preload_length 0
		.amdhsa_user_sgpr_kernarg_preload_offset 0
		.amdhsa_user_sgpr_private_segment_size 0
		.amdhsa_uses_dynamic_stack 0
		.amdhsa_system_sgpr_private_segment_wavefront_offset 0
		.amdhsa_system_sgpr_workgroup_id_x 1
		.amdhsa_system_sgpr_workgroup_id_y 0
		.amdhsa_system_sgpr_workgroup_id_z 0
		.amdhsa_system_sgpr_workgroup_info 0
		.amdhsa_system_vgpr_workitem_id 0
		.amdhsa_next_free_vgpr 35
		.amdhsa_next_free_sgpr 40
		.amdhsa_accum_offset 36
		.amdhsa_reserve_vcc 1
		.amdhsa_reserve_flat_scratch 0
		.amdhsa_float_round_mode_32 0
		.amdhsa_float_round_mode_16_64 0
		.amdhsa_float_denorm_mode_32 3
		.amdhsa_float_denorm_mode_16_64 3
		.amdhsa_dx10_clamp 1
		.amdhsa_ieee_mode 1
		.amdhsa_fp16_overflow 0
		.amdhsa_tg_split 0
		.amdhsa_exception_fp_ieee_invalid_op 0
		.amdhsa_exception_fp_denorm_src 0
		.amdhsa_exception_fp_ieee_div_zero 0
		.amdhsa_exception_fp_ieee_overflow 0
		.amdhsa_exception_fp_ieee_underflow 0
		.amdhsa_exception_fp_ieee_inexact 0
		.amdhsa_exception_int_div_zero 0
	.end_amdhsa_kernel
	.section	.text._ZN9rocsparseL29bsrmmnt_small_blockdim_kernelILj64ELj32ELj2EllaaiiEEv20rocsparse_direction_T3_S2_llNS_24const_host_device_scalarIT7_EEPKT2_PKS2_PKT4_PKT5_llS5_PT6_ll16rocsparse_order_21rocsparse_index_base_b,"axG",@progbits,_ZN9rocsparseL29bsrmmnt_small_blockdim_kernelILj64ELj32ELj2EllaaiiEEv20rocsparse_direction_T3_S2_llNS_24const_host_device_scalarIT7_EEPKT2_PKS2_PKT4_PKT5_llS5_PT6_ll16rocsparse_order_21rocsparse_index_base_b,comdat
.Lfunc_end91:
	.size	_ZN9rocsparseL29bsrmmnt_small_blockdim_kernelILj64ELj32ELj2EllaaiiEEv20rocsparse_direction_T3_S2_llNS_24const_host_device_scalarIT7_EEPKT2_PKS2_PKT4_PKT5_llS5_PT6_ll16rocsparse_order_21rocsparse_index_base_b, .Lfunc_end91-_ZN9rocsparseL29bsrmmnt_small_blockdim_kernelILj64ELj32ELj2EllaaiiEEv20rocsparse_direction_T3_S2_llNS_24const_host_device_scalarIT7_EEPKT2_PKS2_PKT4_PKT5_llS5_PT6_ll16rocsparse_order_21rocsparse_index_base_b
                                        ; -- End function
	.section	.AMDGPU.csdata,"",@progbits
; Kernel info:
; codeLenInByte = 1480
; NumSgprs: 44
; NumVgprs: 35
; NumAgprs: 0
; TotalNumVgprs: 35
; ScratchSize: 0
; MemoryBound: 0
; FloatMode: 240
; IeeeMode: 1
; LDSByteSize: 704 bytes/workgroup (compile time only)
; SGPRBlocks: 5
; VGPRBlocks: 4
; NumSGPRsForWavesPerEU: 44
; NumVGPRsForWavesPerEU: 35
; AccumOffset: 36
; Occupancy: 8
; WaveLimiterHint : 1
; COMPUTE_PGM_RSRC2:SCRATCH_EN: 0
; COMPUTE_PGM_RSRC2:USER_SGPR: 6
; COMPUTE_PGM_RSRC2:TRAP_HANDLER: 0
; COMPUTE_PGM_RSRC2:TGID_X_EN: 1
; COMPUTE_PGM_RSRC2:TGID_Y_EN: 0
; COMPUTE_PGM_RSRC2:TGID_Z_EN: 0
; COMPUTE_PGM_RSRC2:TIDIG_COMP_CNT: 0
; COMPUTE_PGM_RSRC3_GFX90A:ACCUM_OFFSET: 8
; COMPUTE_PGM_RSRC3_GFX90A:TG_SPLIT: 0
	.section	.text._ZN9rocsparseL29bsrmmnt_small_blockdim_kernelILj64ELj64ELj2EllaaiiEEv20rocsparse_direction_T3_S2_llNS_24const_host_device_scalarIT7_EEPKT2_PKS2_PKT4_PKT5_llS5_PT6_ll16rocsparse_order_21rocsparse_index_base_b,"axG",@progbits,_ZN9rocsparseL29bsrmmnt_small_blockdim_kernelILj64ELj64ELj2EllaaiiEEv20rocsparse_direction_T3_S2_llNS_24const_host_device_scalarIT7_EEPKT2_PKS2_PKT4_PKT5_llS5_PT6_ll16rocsparse_order_21rocsparse_index_base_b,comdat
	.globl	_ZN9rocsparseL29bsrmmnt_small_blockdim_kernelILj64ELj64ELj2EllaaiiEEv20rocsparse_direction_T3_S2_llNS_24const_host_device_scalarIT7_EEPKT2_PKS2_PKT4_PKT5_llS5_PT6_ll16rocsparse_order_21rocsparse_index_base_b ; -- Begin function _ZN9rocsparseL29bsrmmnt_small_blockdim_kernelILj64ELj64ELj2EllaaiiEEv20rocsparse_direction_T3_S2_llNS_24const_host_device_scalarIT7_EEPKT2_PKS2_PKT4_PKT5_llS5_PT6_ll16rocsparse_order_21rocsparse_index_base_b
	.p2align	8
	.type	_ZN9rocsparseL29bsrmmnt_small_blockdim_kernelILj64ELj64ELj2EllaaiiEEv20rocsparse_direction_T3_S2_llNS_24const_host_device_scalarIT7_EEPKT2_PKS2_PKT4_PKT5_llS5_PT6_ll16rocsparse_order_21rocsparse_index_base_b,@function
_ZN9rocsparseL29bsrmmnt_small_blockdim_kernelILj64ELj64ELj2EllaaiiEEv20rocsparse_direction_T3_S2_llNS_24const_host_device_scalarIT7_EEPKT2_PKS2_PKT4_PKT5_llS5_PT6_ll16rocsparse_order_21rocsparse_index_base_b: ; @_ZN9rocsparseL29bsrmmnt_small_blockdim_kernelILj64ELj64ELj2EllaaiiEEv20rocsparse_direction_T3_S2_llNS_24const_host_device_scalarIT7_EEPKT2_PKS2_PKT4_PKT5_llS5_PT6_ll16rocsparse_order_21rocsparse_index_base_b
; %bb.0:
	s_load_dwordx4 s[0:3], s[4:5], 0x80
	s_load_dwordx2 s[10:11], s[4:5], 0x28
	s_mov_b64 s[12:13], -1
                                        ; implicit-def: $sgpr30
	s_waitcnt lgkmcnt(0)
	s_bitcmp1_b32 s2, 0
	s_cselect_b64 s[2:3], -1, 0
	s_xor_b64 s[8:9], s[2:3], -1
	s_and_b64 vcc, exec, s[8:9]
	s_cbranch_vccnz .LBB92_4
; %bb.1:
	s_load_dwordx2 s[2:3], s[4:5], 0x60
	s_andn2_b64 vcc, exec, s[12:13]
	s_cbranch_vccz .LBB92_5
.LBB92_2:
	s_and_b64 vcc, exec, s[8:9]
	s_cbranch_vccz .LBB92_6
.LBB92_3:
	s_waitcnt lgkmcnt(0)
	s_load_dword s31, s[2:3], 0x0
	s_cbranch_execz .LBB92_7
	s_branch .LBB92_8
.LBB92_4:
	s_load_dword s30, s[10:11], 0x0
	s_load_dwordx2 s[2:3], s[4:5], 0x60
	s_cbranch_execnz .LBB92_2
.LBB92_5:
	s_waitcnt lgkmcnt(0)
	s_mov_b32 s30, s10
	s_and_b64 vcc, exec, s[8:9]
	s_cbranch_vccnz .LBB92_3
.LBB92_6:
                                        ; implicit-def: $sgpr31
.LBB92_7:
	s_waitcnt lgkmcnt(0)
	s_mov_b32 s31, s2
.LBB92_8:
	s_waitcnt lgkmcnt(0)
	s_cmp_eq_u32 s30, 0
	s_cselect_b64 s[2:3], -1, 0
	s_cmp_eq_u32 s31, 1
	s_cselect_b64 s[8:9], -1, 0
	s_and_b64 s[2:3], s[2:3], s[8:9]
	s_and_b64 vcc, exec, s[2:3]
	s_cbranch_vccnz .LBB92_34
; %bb.9:
	s_load_dword s2, s[4:5], 0x9c
	s_load_dwordx4 s[16:19], s[4:5], 0x8
	v_mov_b32_e32 v3, 0
	s_waitcnt lgkmcnt(0)
	s_and_b32 s2, s2, 0xffff
	s_mul_i32 s6, s6, s2
	v_add_u32_e32 v1, s6, v0
	v_lshrrev_b32_e32 v2, 7, v1
	v_cmp_gt_i64_e32 vcc, s[16:17], v[2:3]
	s_and_saveexec_b64 s[2:3], vcc
	s_cbranch_execz .LBB92_34
; %bb.10:
	v_cmp_lt_i64_e64 s[2:3], s[18:19], 1
	s_and_b64 vcc, exec, s[2:3]
	s_cbranch_vccnz .LBB92_34
; %bb.11:
	s_load_dwordx8 s[8:15], s[4:5], 0x30
	v_lshlrev_b32_e32 v2, 3, v2
	s_cmp_lg_u32 s31, 0
	v_lshrrev_b32_e32 v7, 6, v1
	v_mul_u32_u24_e32 v4, 3, v0
	s_waitcnt lgkmcnt(0)
	global_load_dwordx4 v[8:11], v2, s[8:9]
	s_load_dword s2, s[4:5], 0x0
	s_load_dwordx4 s[20:23], s[4:5], 0x68
	s_load_dwordx2 s[6:7], s[4:5], 0x50
	s_cselect_b64 s[16:17], -1, 0
	s_cmp_lg_u32 s0, 1
	v_or_b32_e32 v19, 0x200, v4
	s_cselect_b64 s[24:25], -1, 0
	s_waitcnt lgkmcnt(0)
	s_cmp_eq_u32 s2, 0
	v_mad_u64_u32 v[4:5], s[2:3], v7, s22, 0
	v_mov_b32_e32 v6, v5
	s_cselect_b64 s[2:3], -1, 0
	v_bfe_u32 v2, v1, 6, 1
	v_mov_b32_e32 v3, 0
	v_lshlrev_b32_e32 v12, 2, v7
	v_cndmask_b32_e64 v5, 0, 1, s[2:3]
	v_mad_u64_u32 v[6:7], s[4:5], v7, s23, v[6:7]
	v_mov_b32_e32 v13, s21
	v_add_co_u32_e32 v20, vcc, s20, v12
	v_lshlrev_b64 v[2:3], v5, v[2:3]
	v_mov_b32_e32 v5, v6
	v_addc_co_u32_e32 v21, vcc, 0, v13, vcc
	v_lshlrev_b64 v[4:5], 2, v[4:5]
	v_add_co_u32_e32 v22, vcc, s20, v4
	v_addc_co_u32_e32 v23, vcc, v13, v5, vcc
	s_and_b64 s[2:3], s[2:3], exec
	s_mov_b32 s33, 0
	s_mov_b32 s34, s1
	v_lshlrev_b32_e32 v1, 3, v0
	v_mov_b32_e32 v18, 0x200
	s_mov_b64 s[8:9], 0
	s_mov_b32 s35, 0xc0c0400
	s_mov_b32 s36, 0x4000c0c
	s_cselect_b32 s37, 1, 2
	s_mov_b32 s38, 0xc0c0100
	s_waitcnt vmcnt(0)
	v_subrev_co_u32_e32 v4, vcc, s1, v8
	v_subbrev_co_u32_e32 v5, vcc, 0, v9, vcc
	v_subrev_co_u32_e32 v6, vcc, s1, v10
	v_subbrev_co_u32_e32 v7, vcc, 0, v11, vcc
	v_cmp_lt_i64_e64 s[0:1], v[8:9], v[10:11]
	s_branch .LBB92_13
.LBB92_12:                              ;   in Loop: Header=BB92_13 Depth=1
	s_or_b64 exec, exec, s[2:3]
	s_add_u32 s8, s8, 64
	s_addc_u32 s9, s9, 0
	v_pk_mov_b32 v[8:9], s[18:19], s[18:19] op_sel:[0,1]
	v_cmp_lt_i64_e32 vcc, s[8:9], v[8:9]
	s_cbranch_vccz .LBB92_34
.LBB92_13:                              ; =>This Loop Header: Depth=1
                                        ;     Child Loop BB92_16 Depth 2
                                        ;       Child Loop BB92_20 Depth 3
	v_or_b32_e64 v9, s9, 0
	v_or_b32_e32 v8, s8, v0
	v_mov_b32_e32 v24, 0
	s_and_saveexec_b64 s[20:21], s[0:1]
	s_cbranch_execz .LBB92_22
; %bb.14:                               ;   in Loop: Header=BB92_13 Depth=1
	v_mov_b32_e32 v11, s15
	v_add_co_u32_e64 v10, s[2:3], s14, v8
	v_cmp_gt_i64_e32 vcc, s[18:19], v[8:9]
	v_addc_co_u32_e64 v11, s[2:3], v11, v9, s[2:3]
	s_mov_b64 s[26:27], 0
	v_mov_b32_e32 v24, 0
	v_pk_mov_b32 v[12:13], v[4:5], v[4:5] op_sel:[0,1]
	s_branch .LBB92_16
.LBB92_15:                              ;   in Loop: Header=BB92_16 Depth=2
	s_or_b64 exec, exec, s[28:29]
	v_add_co_u32_e64 v12, s[2:3], 64, v12
	v_addc_co_u32_e64 v13, s[2:3], 0, v13, s[2:3]
	v_cmp_ge_i64_e64 s[2:3], v[12:13], v[6:7]
	s_or_b64 s[26:27], s[2:3], s[26:27]
	s_andn2_b64 exec, exec, s[26:27]
	s_cbranch_execz .LBB92_21
.LBB92_16:                              ;   Parent Loop BB92_13 Depth=1
                                        ; =>  This Loop Header: Depth=2
                                        ;       Child Loop BB92_20 Depth 3
	v_add_co_u32_e64 v14, s[2:3], v12, v0
	v_addc_co_u32_e64 v15, s[2:3], 0, v13, s[2:3]
	v_cmp_lt_i64_e64 s[2:3], v[14:15], v[6:7]
	v_pk_mov_b32 v[16:17], 0, 0
	v_mov_b32_e32 v25, 0
	v_mov_b32_e32 v26, 0
	s_and_saveexec_b64 s[4:5], s[2:3]
	s_cbranch_execz .LBB92_18
; %bb.17:                               ;   in Loop: Header=BB92_16 Depth=2
	v_lshlrev_b64 v[16:17], 3, v[14:15]
	v_mov_b32_e32 v25, s11
	v_add_co_u32_e64 v16, s[2:3], s10, v16
	v_lshlrev_b64 v[14:15], 2, v[14:15]
	v_addc_co_u32_e64 v17, s[2:3], v25, v17, s[2:3]
	v_or_b32_e32 v26, v14, v2
	global_load_dwordx2 v[16:17], v[16:17], off
	v_or_b32_e32 v25, v15, v3
	v_mov_b32_e32 v27, s13
	v_add_co_u32_e64 v14, s[2:3], s12, v26
	v_addc_co_u32_e64 v15, s[2:3], v27, v25, s[2:3]
	v_or_b32_e32 v26, s37, v26
	v_or_b32_e32 v25, 0, v25
	v_add_co_u32_e64 v28, s[2:3], s12, v26
	v_addc_co_u32_e64 v29, s[2:3], v27, v25, s[2:3]
	global_load_ubyte v25, v[14:15], off
	global_load_ubyte v26, v[28:29], off
	v_mov_b32_e32 v15, s33
	s_waitcnt vmcnt(2)
	v_subrev_co_u32_e64 v14, s[2:3], s34, v16
	v_subb_co_u32_e64 v15, s[2:3], v17, v15, s[2:3]
	v_lshlrev_b64 v[16:17], 1, v[14:15]
.LBB92_18:                              ;   in Loop: Header=BB92_16 Depth=2
	s_or_b64 exec, exec, s[4:5]
	ds_write_b64 v1, v[16:17]
	s_waitcnt vmcnt(1)
	ds_write_b8 v19, v25
	s_waitcnt vmcnt(0)
	ds_write_b8 v19, v26 offset:1
	s_waitcnt lgkmcnt(0)
	; wave barrier
	s_waitcnt lgkmcnt(0)
	s_and_saveexec_b64 s[28:29], vcc
	s_cbranch_execz .LBB92_15
; %bb.19:                               ;   in Loop: Header=BB92_16 Depth=2
	s_mov_b32 s39, 0
	v_mov_b32_e32 v14, 0
.LBB92_20:                              ;   Parent Loop BB92_13 Depth=1
                                        ;     Parent Loop BB92_16 Depth=2
                                        ; =>    This Inner Loop Header: Depth=3
	ds_read_b128 v[26:29], v14
	v_mov_b32_e32 v15, s7
	v_add_u32_e32 v14, 16, v14
	s_waitcnt lgkmcnt(0)
	v_mad_u64_u32 v[16:17], s[2:3], v26, s6, v[10:11]
	v_mul_lo_u32 v25, v26, s7
	v_mul_lo_u32 v30, v27, s6
	v_mad_u64_u32 v[26:27], s[2:3], v28, s6, v[10:11]
	v_mul_lo_u32 v28, v28, s7
	v_mul_lo_u32 v29, v29, s6
	v_add3_u32 v17, v30, v17, v25
	v_add3_u32 v27, v29, v27, v28
	v_add_co_u32_e64 v28, s[2:3], s6, v26
	v_add_co_u32_e64 v30, s[4:5], s6, v16
	v_addc_co_u32_e64 v31, s[4:5], v17, v15, s[4:5]
	v_addc_co_u32_e64 v29, s[2:3], v27, v15, s[2:3]
	global_load_sbyte v15, v[16:17], off
	global_load_sbyte v25, v[26:27], off
	;; [unrolled: 1-line block ×4, first 2 shown]
	v_add_u32_e32 v16, s39, v18
	ds_read_u16 v17, v16
	ds_read_i8 v26, v16 offset:3
	ds_read_i8 v16, v16 offset:4
	s_add_i32 s39, s39, 6
	s_cmpk_lg_i32 s39, 0xc0
	s_waitcnt lgkmcnt(2)
	v_perm_b32 v17, v17, v17, s38
	s_waitcnt lgkmcnt(0)
	v_perm_b32 v16, v16, v26, s36
	v_or_b32_e32 v16, v16, v17
	s_waitcnt vmcnt(1)
	v_perm_b32 v15, v32, v15, s35
	s_waitcnt vmcnt(0)
	v_perm_b32 v17, v33, v25, s36
	v_or_b32_e32 v15, v17, v15
	v_dot4c_i32_i8_e32 v24, v16, v15
	s_cbranch_scc1 .LBB92_20
	s_branch .LBB92_15
.LBB92_21:                              ;   in Loop: Header=BB92_13 Depth=1
	s_or_b64 exec, exec, s[26:27]
.LBB92_22:                              ;   in Loop: Header=BB92_13 Depth=1
	s_or_b64 exec, exec, s[20:21]
	v_cmp_gt_i64_e32 vcc, s[18:19], v[8:9]
	s_and_saveexec_b64 s[2:3], vcc
	s_cbranch_execz .LBB92_12
; %bb.23:                               ;   in Loop: Header=BB92_13 Depth=1
	s_mov_b64 s[4:5], -1
	s_and_b64 vcc, exec, s[16:17]
	s_cbranch_vccz .LBB92_29
; %bb.24:                               ;   in Loop: Header=BB92_13 Depth=1
	s_and_b64 vcc, exec, s[24:25]
	s_cbranch_vccz .LBB92_26
; %bb.25:                               ;   in Loop: Header=BB92_13 Depth=1
	v_lshlrev_b64 v[10:11], 2, v[8:9]
	v_add_co_u32_e32 v10, vcc, v22, v10
	v_addc_co_u32_e32 v11, vcc, v23, v11, vcc
	global_load_dword v13, v[10:11], off
	v_mul_lo_u32 v12, v24, s30
	s_waitcnt vmcnt(0)
	v_mad_u64_u32 v[12:13], s[4:5], v13, s31, v[12:13]
	global_store_dword v[10:11], v12, off
	s_mov_b64 s[4:5], 0
.LBB92_26:                              ;   in Loop: Header=BB92_13 Depth=1
	s_andn2_b64 vcc, exec, s[4:5]
	s_cbranch_vccnz .LBB92_28
; %bb.27:                               ;   in Loop: Header=BB92_13 Depth=1
	v_mul_lo_u32 v12, v9, s22
	v_mul_lo_u32 v13, v8, s23
	v_mad_u64_u32 v[10:11], s[4:5], v8, s22, 0
	v_add3_u32 v11, v11, v13, v12
	v_lshlrev_b64 v[10:11], 2, v[10:11]
	v_add_co_u32_e32 v10, vcc, v20, v10
	v_addc_co_u32_e32 v11, vcc, v21, v11, vcc
	global_load_dword v13, v[10:11], off
	v_mul_lo_u32 v12, v24, s30
	s_waitcnt vmcnt(0)
	v_mad_u64_u32 v[12:13], s[4:5], v13, s31, v[12:13]
	global_store_dword v[10:11], v12, off
.LBB92_28:                              ;   in Loop: Header=BB92_13 Depth=1
	s_mov_b64 s[4:5], 0
.LBB92_29:                              ;   in Loop: Header=BB92_13 Depth=1
	s_andn2_b64 vcc, exec, s[4:5]
	s_cbranch_vccnz .LBB92_12
; %bb.30:                               ;   in Loop: Header=BB92_13 Depth=1
	v_mul_lo_u32 v10, v24, s30
	s_mov_b64 s[4:5], -1
	s_and_b64 vcc, exec, s[24:25]
	s_cbranch_vccz .LBB92_32
; %bb.31:                               ;   in Loop: Header=BB92_13 Depth=1
	v_lshlrev_b64 v[12:13], 2, v[8:9]
	v_add_co_u32_e32 v12, vcc, v22, v12
	v_addc_co_u32_e32 v13, vcc, v23, v13, vcc
	global_store_dword v[12:13], v10, off
	s_mov_b64 s[4:5], 0
.LBB92_32:                              ;   in Loop: Header=BB92_13 Depth=1
	s_andn2_b64 vcc, exec, s[4:5]
	s_cbranch_vccnz .LBB92_12
; %bb.33:                               ;   in Loop: Header=BB92_13 Depth=1
	v_mul_lo_u32 v11, v9, s22
	v_mul_lo_u32 v12, v8, s23
	v_mad_u64_u32 v[8:9], s[4:5], v8, s22, 0
	v_add3_u32 v9, v9, v12, v11
	v_lshlrev_b64 v[8:9], 2, v[8:9]
	v_add_co_u32_e32 v8, vcc, v20, v8
	v_addc_co_u32_e32 v9, vcc, v21, v9, vcc
	global_store_dword v[8:9], v10, off
	s_branch .LBB92_12
.LBB92_34:
	s_endpgm
	.section	.rodata,"a",@progbits
	.p2align	6, 0x0
	.amdhsa_kernel _ZN9rocsparseL29bsrmmnt_small_blockdim_kernelILj64ELj64ELj2EllaaiiEEv20rocsparse_direction_T3_S2_llNS_24const_host_device_scalarIT7_EEPKT2_PKS2_PKT4_PKT5_llS5_PT6_ll16rocsparse_order_21rocsparse_index_base_b
		.amdhsa_group_segment_fixed_size 704
		.amdhsa_private_segment_fixed_size 0
		.amdhsa_kernarg_size 400
		.amdhsa_user_sgpr_count 6
		.amdhsa_user_sgpr_private_segment_buffer 1
		.amdhsa_user_sgpr_dispatch_ptr 0
		.amdhsa_user_sgpr_queue_ptr 0
		.amdhsa_user_sgpr_kernarg_segment_ptr 1
		.amdhsa_user_sgpr_dispatch_id 0
		.amdhsa_user_sgpr_flat_scratch_init 0
		.amdhsa_user_sgpr_kernarg_preload_length 0
		.amdhsa_user_sgpr_kernarg_preload_offset 0
		.amdhsa_user_sgpr_private_segment_size 0
		.amdhsa_uses_dynamic_stack 0
		.amdhsa_system_sgpr_private_segment_wavefront_offset 0
		.amdhsa_system_sgpr_workgroup_id_x 1
		.amdhsa_system_sgpr_workgroup_id_y 0
		.amdhsa_system_sgpr_workgroup_id_z 0
		.amdhsa_system_sgpr_workgroup_info 0
		.amdhsa_system_vgpr_workitem_id 0
		.amdhsa_next_free_vgpr 34
		.amdhsa_next_free_sgpr 40
		.amdhsa_accum_offset 36
		.amdhsa_reserve_vcc 1
		.amdhsa_reserve_flat_scratch 0
		.amdhsa_float_round_mode_32 0
		.amdhsa_float_round_mode_16_64 0
		.amdhsa_float_denorm_mode_32 3
		.amdhsa_float_denorm_mode_16_64 3
		.amdhsa_dx10_clamp 1
		.amdhsa_ieee_mode 1
		.amdhsa_fp16_overflow 0
		.amdhsa_tg_split 0
		.amdhsa_exception_fp_ieee_invalid_op 0
		.amdhsa_exception_fp_denorm_src 0
		.amdhsa_exception_fp_ieee_div_zero 0
		.amdhsa_exception_fp_ieee_overflow 0
		.amdhsa_exception_fp_ieee_underflow 0
		.amdhsa_exception_fp_ieee_inexact 0
		.amdhsa_exception_int_div_zero 0
	.end_amdhsa_kernel
	.section	.text._ZN9rocsparseL29bsrmmnt_small_blockdim_kernelILj64ELj64ELj2EllaaiiEEv20rocsparse_direction_T3_S2_llNS_24const_host_device_scalarIT7_EEPKT2_PKS2_PKT4_PKT5_llS5_PT6_ll16rocsparse_order_21rocsparse_index_base_b,"axG",@progbits,_ZN9rocsparseL29bsrmmnt_small_blockdim_kernelILj64ELj64ELj2EllaaiiEEv20rocsparse_direction_T3_S2_llNS_24const_host_device_scalarIT7_EEPKT2_PKS2_PKT4_PKT5_llS5_PT6_ll16rocsparse_order_21rocsparse_index_base_b,comdat
.Lfunc_end92:
	.size	_ZN9rocsparseL29bsrmmnt_small_blockdim_kernelILj64ELj64ELj2EllaaiiEEv20rocsparse_direction_T3_S2_llNS_24const_host_device_scalarIT7_EEPKT2_PKS2_PKT4_PKT5_llS5_PT6_ll16rocsparse_order_21rocsparse_index_base_b, .Lfunc_end92-_ZN9rocsparseL29bsrmmnt_small_blockdim_kernelILj64ELj64ELj2EllaaiiEEv20rocsparse_direction_T3_S2_llNS_24const_host_device_scalarIT7_EEPKT2_PKS2_PKT4_PKT5_llS5_PT6_ll16rocsparse_order_21rocsparse_index_base_b
                                        ; -- End function
	.section	.AMDGPU.csdata,"",@progbits
; Kernel info:
; codeLenInByte = 1460
; NumSgprs: 44
; NumVgprs: 34
; NumAgprs: 0
; TotalNumVgprs: 34
; ScratchSize: 0
; MemoryBound: 0
; FloatMode: 240
; IeeeMode: 1
; LDSByteSize: 704 bytes/workgroup (compile time only)
; SGPRBlocks: 5
; VGPRBlocks: 4
; NumSGPRsForWavesPerEU: 44
; NumVGPRsForWavesPerEU: 34
; AccumOffset: 36
; Occupancy: 8
; WaveLimiterHint : 1
; COMPUTE_PGM_RSRC2:SCRATCH_EN: 0
; COMPUTE_PGM_RSRC2:USER_SGPR: 6
; COMPUTE_PGM_RSRC2:TRAP_HANDLER: 0
; COMPUTE_PGM_RSRC2:TGID_X_EN: 1
; COMPUTE_PGM_RSRC2:TGID_Y_EN: 0
; COMPUTE_PGM_RSRC2:TGID_Z_EN: 0
; COMPUTE_PGM_RSRC2:TIDIG_COMP_CNT: 0
; COMPUTE_PGM_RSRC3_GFX90A:ACCUM_OFFSET: 8
; COMPUTE_PGM_RSRC3_GFX90A:TG_SPLIT: 0
	.section	.text._ZN9rocsparseL29bsrmmnt_small_blockdim_kernelILj64ELj8ELj2EiiaaffEEv20rocsparse_direction_T3_S2_llNS_24const_host_device_scalarIT7_EEPKT2_PKS2_PKT4_PKT5_llS5_PT6_ll16rocsparse_order_21rocsparse_index_base_b,"axG",@progbits,_ZN9rocsparseL29bsrmmnt_small_blockdim_kernelILj64ELj8ELj2EiiaaffEEv20rocsparse_direction_T3_S2_llNS_24const_host_device_scalarIT7_EEPKT2_PKS2_PKT4_PKT5_llS5_PT6_ll16rocsparse_order_21rocsparse_index_base_b,comdat
	.globl	_ZN9rocsparseL29bsrmmnt_small_blockdim_kernelILj64ELj8ELj2EiiaaffEEv20rocsparse_direction_T3_S2_llNS_24const_host_device_scalarIT7_EEPKT2_PKS2_PKT4_PKT5_llS5_PT6_ll16rocsparse_order_21rocsparse_index_base_b ; -- Begin function _ZN9rocsparseL29bsrmmnt_small_blockdim_kernelILj64ELj8ELj2EiiaaffEEv20rocsparse_direction_T3_S2_llNS_24const_host_device_scalarIT7_EEPKT2_PKS2_PKT4_PKT5_llS5_PT6_ll16rocsparse_order_21rocsparse_index_base_b
	.p2align	8
	.type	_ZN9rocsparseL29bsrmmnt_small_blockdim_kernelILj64ELj8ELj2EiiaaffEEv20rocsparse_direction_T3_S2_llNS_24const_host_device_scalarIT7_EEPKT2_PKS2_PKT4_PKT5_llS5_PT6_ll16rocsparse_order_21rocsparse_index_base_b,@function
_ZN9rocsparseL29bsrmmnt_small_blockdim_kernelILj64ELj8ELj2EiiaaffEEv20rocsparse_direction_T3_S2_llNS_24const_host_device_scalarIT7_EEPKT2_PKS2_PKT4_PKT5_llS5_PT6_ll16rocsparse_order_21rocsparse_index_base_b: ; @_ZN9rocsparseL29bsrmmnt_small_blockdim_kernelILj64ELj8ELj2EiiaaffEEv20rocsparse_direction_T3_S2_llNS_24const_host_device_scalarIT7_EEPKT2_PKS2_PKT4_PKT5_llS5_PT6_ll16rocsparse_order_21rocsparse_index_base_b
; %bb.0:
	s_load_dwordx4 s[16:19], s[4:5], 0x78
	s_load_dwordx2 s[28:29], s[4:5], 0x20
	s_load_dwordx2 s[30:31], s[4:5], 0x58
	s_waitcnt lgkmcnt(0)
	s_bitcmp1_b32 s18, 0
	s_cselect_b64 s[2:3], -1, 0
	s_xor_b64 s[0:1], s[2:3], -1
	s_and_b64 vcc, exec, s[2:3]
	s_cbranch_vccnz .LBB93_2
; %bb.1:
	s_load_dword s28, s[28:29], 0x0
.LBB93_2:
	s_andn2_b64 vcc, exec, s[0:1]
	s_cbranch_vccnz .LBB93_4
; %bb.3:
	s_load_dword s30, s[30:31], 0x0
.LBB93_4:
	s_waitcnt lgkmcnt(0)
	v_cmp_eq_f32_e64 s[0:1], s28, 0
	v_cmp_eq_f32_e64 s[2:3], s30, 1.0
	s_and_b64 s[0:1], s[0:1], s[2:3]
	s_and_b64 vcc, exec, s[0:1]
	s_cbranch_vccnz .LBB93_30
; %bb.5:
	s_load_dword s0, s[4:5], 0x94
	s_load_dwordx4 s[20:23], s[4:5], 0x0
	s_waitcnt lgkmcnt(0)
	s_and_b32 s0, s0, 0xffff
	s_mul_i32 s6, s6, s0
	v_add_u32_e32 v1, s6, v0
	v_lshrrev_b32_e32 v2, 4, v1
	v_cmp_gt_i32_e32 vcc, s21, v2
	s_and_saveexec_b64 s[0:1], vcc
	s_cbranch_execz .LBB93_30
; %bb.6:
	s_cmp_lt_i32 s22, 1
	s_cbranch_scc1 .LBB93_30
; %bb.7:
	s_load_dwordx8 s[8:15], s[4:5], 0x28
	v_lshlrev_b32_e32 v2, 2, v2
	s_cmp_lg_u32 s16, 1
	v_and_b32_e32 v6, 7, v0
	v_lshrrev_b32_e32 v0, 3, v0
	s_waitcnt lgkmcnt(0)
	global_load_dwordx2 v[2:3], v2, s[8:9]
	s_load_dwordx4 s[24:27], s[4:5], 0x60
	s_load_dwordx2 s[6:7], s[4:5], 0x48
	s_cselect_b64 s[8:9], -1, 0
	s_cmp_eq_u32 s20, 0
	v_lshrrev_b32_e32 v5, 3, v1
	v_lshlrev_b32_e32 v7, 5, v0
	v_mul_u32_u24_e32 v0, 24, v0
	s_cselect_b64 s[0:1], -1, 0
	v_bfe_u32 v17, v1, 3, 1
	v_or_b32_e32 v9, 0x100, v0
	v_cndmask_b32_e64 v18, 0, 1, s[0:1]
	s_and_b64 s[0:1], s[0:1], exec
	s_waitcnt lgkmcnt(0)
	v_mad_u64_u32 v[0:1], s[0:1], v5, s26, 0
	v_mov_b32_e32 v4, v1
	v_lshlrev_b32_e32 v11, 2, v5
	v_mad_u64_u32 v[4:5], s[0:1], v5, s27, v[4:5]
	v_mov_b32_e32 v14, s25
	v_add_co_u32_e32 v11, vcc, s24, v11
	v_mov_b32_e32 v1, v4
	v_addc_co_u32_e32 v12, vcc, 0, v14, vcc
	v_lshlrev_b64 v[0:1], 2, v[0:1]
	v_add_co_u32_e32 v13, vcc, s24, v0
	s_mov_b32 s16, 0
	v_cmp_neq_f32_e64 s[4:5], s30, 0
	v_lshl_or_b32 v8, v6, 2, v7
	v_mad_u32_u24 v10, v6, 3, v9
	s_cselect_b32 s23, 1, 2
	v_addc_co_u32_e32 v14, vcc, v14, v1, vcc
	v_lshlrev_b32_e32 v17, v18, v17
	s_waitcnt vmcnt(0)
	v_subrev_u32_e32 v15, s17, v2
	v_subrev_u32_e32 v16, s17, v3
	v_cmp_lt_i32_e64 s[0:1], v2, v3
	s_branch .LBB93_9
.LBB93_8:                               ;   in Loop: Header=BB93_9 Depth=1
	s_or_b64 exec, exec, s[2:3]
	s_add_i32 s16, s16, 8
	s_cmp_lt_i32 s16, s22
	s_cbranch_scc0 .LBB93_30
.LBB93_9:                               ; =>This Loop Header: Depth=1
                                        ;     Child Loop BB93_12 Depth 2
                                        ;       Child Loop BB93_16 Depth 3
	v_or_b32_e32 v0, s16, v6
	v_ashrrev_i32_e32 v1, 31, v0
	v_mov_b32_e32 v18, 0
	s_and_saveexec_b64 s[18:19], s[0:1]
	s_cbranch_execz .LBB93_18
; %bb.10:                               ;   in Loop: Header=BB93_9 Depth=1
	v_mov_b32_e32 v3, s15
	v_add_co_u32_e64 v2, s[2:3], s14, v0
	v_cmp_gt_i32_e32 vcc, s22, v0
	v_addc_co_u32_e64 v3, s[2:3], v3, v1, s[2:3]
	s_mov_b64 s[20:21], 0
	v_mov_b32_e32 v18, 0
	v_mov_b32_e32 v19, v15
	s_branch .LBB93_12
.LBB93_11:                              ;   in Loop: Header=BB93_12 Depth=2
	s_or_b64 exec, exec, s[2:3]
	v_add_u32_e32 v19, 8, v19
	v_cmp_ge_i32_e64 s[2:3], v19, v16
	s_or_b64 s[20:21], s[2:3], s[20:21]
	s_andn2_b64 exec, exec, s[20:21]
	s_cbranch_execz .LBB93_17
.LBB93_12:                              ;   Parent Loop BB93_9 Depth=1
                                        ; =>  This Loop Header: Depth=2
                                        ;       Child Loop BB93_16 Depth 3
	v_add_u32_e32 v4, v19, v6
	v_cmp_lt_i32_e64 s[2:3], v4, v16
	v_mov_b32_e32 v20, 0
	v_mov_b32_e32 v5, 0
	;; [unrolled: 1-line block ×3, first 2 shown]
	s_and_saveexec_b64 s[24:25], s[2:3]
	s_cbranch_execz .LBB93_14
; %bb.13:                               ;   in Loop: Header=BB93_12 Depth=2
	v_ashrrev_i32_e32 v5, 31, v4
	v_lshlrev_b64 v[20:21], 2, v[4:5]
	v_lshl_or_b32 v4, v4, 2, v17
	v_or_b32_e32 v22, s23, v4
	global_load_sbyte v22, v22, s[12:13]
	v_mov_b32_e32 v5, s11
	v_add_co_u32_e64 v20, s[2:3], s10, v20
	v_addc_co_u32_e64 v21, s[2:3], v5, v21, s[2:3]
	global_load_dword v23, v[20:21], off
	global_load_ubyte v5, v4, s[12:13]
	s_waitcnt vmcnt(2)
	v_cvt_f32_i32_e32 v21, v22
	s_waitcnt vmcnt(1)
	v_subrev_u32_e32 v4, s17, v23
	v_lshlrev_b32_e32 v20, 1, v4
.LBB93_14:                              ;   in Loop: Header=BB93_12 Depth=2
	s_or_b64 exec, exec, s[24:25]
	v_cvt_i32_f32_e32 v4, v21
	ds_write_b32 v8, v20
	s_waitcnt vmcnt(0)
	ds_write_b8 v10, v5
	ds_write_b8 v10, v4 offset:1
	s_waitcnt lgkmcnt(0)
	; wave barrier
	s_waitcnt lgkmcnt(0)
	s_and_saveexec_b64 s[2:3], vcc
	s_cbranch_execz .LBB93_11
; %bb.15:                               ;   in Loop: Header=BB93_12 Depth=2
	s_mov_b32 s24, 0
	v_mov_b32_e32 v4, v9
.LBB93_16:                              ;   Parent Loop BB93_9 Depth=1
                                        ;     Parent Loop BB93_12 Depth=2
                                        ; =>    This Inner Loop Header: Depth=3
	v_add_u32_e32 v5, s24, v7
	ds_read_b64 v[20:21], v5
	s_add_i32 s24, s24, 8
	s_cmp_lg_u32 s24, 32
	s_waitcnt lgkmcnt(0)
	v_ashrrev_i32_e32 v5, 31, v20
	v_mul_lo_u32 v28, v20, s7
	v_mad_u64_u32 v[22:23], s[34:35], v20, s6, v[2:3]
	v_add_u32_e32 v20, 1, v20
	v_add_u32_e32 v27, 1, v21
	v_ashrrev_i32_e32 v26, 31, v21
	v_mul_lo_u32 v5, v5, s6
	v_ashrrev_i32_e32 v30, 31, v20
	v_ashrrev_i32_e32 v33, 31, v27
	v_mul_lo_u32 v29, v21, s7
	v_mad_u64_u32 v[24:25], s[34:35], v21, s6, v[2:3]
	v_mul_lo_u32 v31, v20, s7
	v_mad_u64_u32 v[20:21], s[34:35], v20, s6, v[2:3]
	v_mul_lo_u32 v32, v26, s6
	v_mul_lo_u32 v34, v27, s7
	v_mad_u64_u32 v[26:27], s[34:35], v27, s6, v[2:3]
	v_add3_u32 v23, v5, v23, v28
	v_mul_lo_u32 v5, v30, s6
	v_mul_lo_u32 v28, v33, s6
	v_add3_u32 v25, v32, v25, v29
	v_add3_u32 v21, v5, v21, v31
	;; [unrolled: 1-line block ×3, first 2 shown]
	global_load_sbyte v5, v[22:23], off
	global_load_sbyte v28, v[20:21], off
	;; [unrolled: 1-line block ×4, first 2 shown]
	ds_read_u16 v20, v4
	ds_read_i8 v21, v4 offset:3
	ds_read_i8 v22, v4 offset:4
	v_add_u32_e32 v4, 6, v4
	s_waitcnt lgkmcnt(2)
	v_bfe_i32 v23, v20, 0, 8
	v_ashrrev_i16_e32 v20, 8, v20
	v_cvt_f32_i32_sdwa v23, sext(v23) dst_sel:DWORD dst_unused:UNUSED_PAD src0_sel:WORD_0
	v_cvt_f32_i32_sdwa v20, sext(v20) dst_sel:DWORD dst_unused:UNUSED_PAD src0_sel:WORD_0
	s_waitcnt lgkmcnt(1)
	v_cvt_f32_i32_e32 v21, v21
	s_waitcnt lgkmcnt(0)
	v_cvt_f32_i32_e32 v22, v22
	s_waitcnt vmcnt(3)
	v_cvt_f32_i32_e32 v5, v5
	s_waitcnt vmcnt(2)
	;; [unrolled: 2-line block ×4, first 2 shown]
	v_cvt_f32_i32_e32 v26, v30
	v_fmac_f32_e32 v18, v23, v5
	v_fmac_f32_e32 v18, v20, v24
	;; [unrolled: 1-line block ×4, first 2 shown]
	s_cbranch_scc1 .LBB93_16
	s_branch .LBB93_11
.LBB93_17:                              ;   in Loop: Header=BB93_9 Depth=1
	s_or_b64 exec, exec, s[20:21]
.LBB93_18:                              ;   in Loop: Header=BB93_9 Depth=1
	s_or_b64 exec, exec, s[18:19]
	v_cmp_gt_i32_e32 vcc, s22, v0
	s_and_saveexec_b64 s[2:3], vcc
	s_cbranch_execz .LBB93_8
; %bb.19:                               ;   in Loop: Header=BB93_9 Depth=1
	s_mov_b64 s[18:19], -1
	s_and_b64 vcc, exec, s[4:5]
	s_cbranch_vccz .LBB93_25
; %bb.20:                               ;   in Loop: Header=BB93_9 Depth=1
	s_and_b64 vcc, exec, s[8:9]
	s_cbranch_vccz .LBB93_22
; %bb.21:                               ;   in Loop: Header=BB93_9 Depth=1
	v_lshlrev_b64 v[2:3], 2, v[0:1]
	v_add_co_u32_e32 v2, vcc, v13, v2
	v_addc_co_u32_e32 v3, vcc, v14, v3, vcc
	global_load_dword v4, v[2:3], off
	v_mul_f32_e32 v5, s28, v18
	s_mov_b64 s[18:19], 0
	s_waitcnt vmcnt(0)
	v_fmac_f32_e32 v5, s30, v4
	global_store_dword v[2:3], v5, off
.LBB93_22:                              ;   in Loop: Header=BB93_9 Depth=1
	s_andn2_b64 vcc, exec, s[18:19]
	s_cbranch_vccnz .LBB93_24
; %bb.23:                               ;   in Loop: Header=BB93_9 Depth=1
	v_mul_lo_u32 v4, v1, s26
	v_mul_lo_u32 v5, v0, s27
	v_mad_u64_u32 v[2:3], s[18:19], v0, s26, 0
	v_add3_u32 v3, v3, v5, v4
	v_lshlrev_b64 v[2:3], 2, v[2:3]
	v_add_co_u32_e32 v2, vcc, v11, v2
	v_addc_co_u32_e32 v3, vcc, v12, v3, vcc
	global_load_dword v4, v[2:3], off
	v_mul_f32_e32 v5, s28, v18
	s_waitcnt vmcnt(0)
	v_fmac_f32_e32 v5, s30, v4
	global_store_dword v[2:3], v5, off
.LBB93_24:                              ;   in Loop: Header=BB93_9 Depth=1
	s_mov_b64 s[18:19], 0
.LBB93_25:                              ;   in Loop: Header=BB93_9 Depth=1
	s_andn2_b64 vcc, exec, s[18:19]
	s_cbranch_vccnz .LBB93_8
; %bb.26:                               ;   in Loop: Header=BB93_9 Depth=1
	v_mul_f32_e32 v2, s28, v18
	s_mov_b64 s[18:19], -1
	s_and_b64 vcc, exec, s[8:9]
	s_cbranch_vccz .LBB93_28
; %bb.27:                               ;   in Loop: Header=BB93_9 Depth=1
	v_lshlrev_b64 v[4:5], 2, v[0:1]
	v_add_co_u32_e32 v4, vcc, v13, v4
	v_addc_co_u32_e32 v5, vcc, v14, v5, vcc
	global_store_dword v[4:5], v2, off
	s_mov_b64 s[18:19], 0
.LBB93_28:                              ;   in Loop: Header=BB93_9 Depth=1
	s_andn2_b64 vcc, exec, s[18:19]
	s_cbranch_vccnz .LBB93_8
; %bb.29:                               ;   in Loop: Header=BB93_9 Depth=1
	v_mul_lo_u32 v3, v1, s26
	v_mul_lo_u32 v4, v0, s27
	v_mad_u64_u32 v[0:1], s[18:19], v0, s26, 0
	v_add3_u32 v1, v1, v4, v3
	v_lshlrev_b64 v[0:1], 2, v[0:1]
	v_add_co_u32_e32 v0, vcc, v11, v0
	v_addc_co_u32_e32 v1, vcc, v12, v1, vcc
	global_store_dword v[0:1], v2, off
	s_branch .LBB93_8
.LBB93_30:
	s_endpgm
	.section	.rodata,"a",@progbits
	.p2align	6, 0x0
	.amdhsa_kernel _ZN9rocsparseL29bsrmmnt_small_blockdim_kernelILj64ELj8ELj2EiiaaffEEv20rocsparse_direction_T3_S2_llNS_24const_host_device_scalarIT7_EEPKT2_PKS2_PKT4_PKT5_llS5_PT6_ll16rocsparse_order_21rocsparse_index_base_b
		.amdhsa_group_segment_fixed_size 448
		.amdhsa_private_segment_fixed_size 0
		.amdhsa_kernarg_size 392
		.amdhsa_user_sgpr_count 6
		.amdhsa_user_sgpr_private_segment_buffer 1
		.amdhsa_user_sgpr_dispatch_ptr 0
		.amdhsa_user_sgpr_queue_ptr 0
		.amdhsa_user_sgpr_kernarg_segment_ptr 1
		.amdhsa_user_sgpr_dispatch_id 0
		.amdhsa_user_sgpr_flat_scratch_init 0
		.amdhsa_user_sgpr_kernarg_preload_length 0
		.amdhsa_user_sgpr_kernarg_preload_offset 0
		.amdhsa_user_sgpr_private_segment_size 0
		.amdhsa_uses_dynamic_stack 0
		.amdhsa_system_sgpr_private_segment_wavefront_offset 0
		.amdhsa_system_sgpr_workgroup_id_x 1
		.amdhsa_system_sgpr_workgroup_id_y 0
		.amdhsa_system_sgpr_workgroup_id_z 0
		.amdhsa_system_sgpr_workgroup_info 0
		.amdhsa_system_vgpr_workitem_id 0
		.amdhsa_next_free_vgpr 35
		.amdhsa_next_free_sgpr 36
		.amdhsa_accum_offset 36
		.amdhsa_reserve_vcc 1
		.amdhsa_reserve_flat_scratch 0
		.amdhsa_float_round_mode_32 0
		.amdhsa_float_round_mode_16_64 0
		.amdhsa_float_denorm_mode_32 3
		.amdhsa_float_denorm_mode_16_64 3
		.amdhsa_dx10_clamp 1
		.amdhsa_ieee_mode 1
		.amdhsa_fp16_overflow 0
		.amdhsa_tg_split 0
		.amdhsa_exception_fp_ieee_invalid_op 0
		.amdhsa_exception_fp_denorm_src 0
		.amdhsa_exception_fp_ieee_div_zero 0
		.amdhsa_exception_fp_ieee_overflow 0
		.amdhsa_exception_fp_ieee_underflow 0
		.amdhsa_exception_fp_ieee_inexact 0
		.amdhsa_exception_int_div_zero 0
	.end_amdhsa_kernel
	.section	.text._ZN9rocsparseL29bsrmmnt_small_blockdim_kernelILj64ELj8ELj2EiiaaffEEv20rocsparse_direction_T3_S2_llNS_24const_host_device_scalarIT7_EEPKT2_PKS2_PKT4_PKT5_llS5_PT6_ll16rocsparse_order_21rocsparse_index_base_b,"axG",@progbits,_ZN9rocsparseL29bsrmmnt_small_blockdim_kernelILj64ELj8ELj2EiiaaffEEv20rocsparse_direction_T3_S2_llNS_24const_host_device_scalarIT7_EEPKT2_PKS2_PKT4_PKT5_llS5_PT6_ll16rocsparse_order_21rocsparse_index_base_b,comdat
.Lfunc_end93:
	.size	_ZN9rocsparseL29bsrmmnt_small_blockdim_kernelILj64ELj8ELj2EiiaaffEEv20rocsparse_direction_T3_S2_llNS_24const_host_device_scalarIT7_EEPKT2_PKS2_PKT4_PKT5_llS5_PT6_ll16rocsparse_order_21rocsparse_index_base_b, .Lfunc_end93-_ZN9rocsparseL29bsrmmnt_small_blockdim_kernelILj64ELj8ELj2EiiaaffEEv20rocsparse_direction_T3_S2_llNS_24const_host_device_scalarIT7_EEPKT2_PKS2_PKT4_PKT5_llS5_PT6_ll16rocsparse_order_21rocsparse_index_base_b
                                        ; -- End function
	.section	.AMDGPU.csdata,"",@progbits
; Kernel info:
; codeLenInByte = 1312
; NumSgprs: 40
; NumVgprs: 35
; NumAgprs: 0
; TotalNumVgprs: 35
; ScratchSize: 0
; MemoryBound: 0
; FloatMode: 240
; IeeeMode: 1
; LDSByteSize: 448 bytes/workgroup (compile time only)
; SGPRBlocks: 4
; VGPRBlocks: 4
; NumSGPRsForWavesPerEU: 40
; NumVGPRsForWavesPerEU: 35
; AccumOffset: 36
; Occupancy: 8
; WaveLimiterHint : 0
; COMPUTE_PGM_RSRC2:SCRATCH_EN: 0
; COMPUTE_PGM_RSRC2:USER_SGPR: 6
; COMPUTE_PGM_RSRC2:TRAP_HANDLER: 0
; COMPUTE_PGM_RSRC2:TGID_X_EN: 1
; COMPUTE_PGM_RSRC2:TGID_Y_EN: 0
; COMPUTE_PGM_RSRC2:TGID_Z_EN: 0
; COMPUTE_PGM_RSRC2:TIDIG_COMP_CNT: 0
; COMPUTE_PGM_RSRC3_GFX90A:ACCUM_OFFSET: 8
; COMPUTE_PGM_RSRC3_GFX90A:TG_SPLIT: 0
	.section	.text._ZN9rocsparseL29bsrmmnt_small_blockdim_kernelILj64ELj16ELj2EiiaaffEEv20rocsparse_direction_T3_S2_llNS_24const_host_device_scalarIT7_EEPKT2_PKS2_PKT4_PKT5_llS5_PT6_ll16rocsparse_order_21rocsparse_index_base_b,"axG",@progbits,_ZN9rocsparseL29bsrmmnt_small_blockdim_kernelILj64ELj16ELj2EiiaaffEEv20rocsparse_direction_T3_S2_llNS_24const_host_device_scalarIT7_EEPKT2_PKS2_PKT4_PKT5_llS5_PT6_ll16rocsparse_order_21rocsparse_index_base_b,comdat
	.globl	_ZN9rocsparseL29bsrmmnt_small_blockdim_kernelILj64ELj16ELj2EiiaaffEEv20rocsparse_direction_T3_S2_llNS_24const_host_device_scalarIT7_EEPKT2_PKS2_PKT4_PKT5_llS5_PT6_ll16rocsparse_order_21rocsparse_index_base_b ; -- Begin function _ZN9rocsparseL29bsrmmnt_small_blockdim_kernelILj64ELj16ELj2EiiaaffEEv20rocsparse_direction_T3_S2_llNS_24const_host_device_scalarIT7_EEPKT2_PKS2_PKT4_PKT5_llS5_PT6_ll16rocsparse_order_21rocsparse_index_base_b
	.p2align	8
	.type	_ZN9rocsparseL29bsrmmnt_small_blockdim_kernelILj64ELj16ELj2EiiaaffEEv20rocsparse_direction_T3_S2_llNS_24const_host_device_scalarIT7_EEPKT2_PKS2_PKT4_PKT5_llS5_PT6_ll16rocsparse_order_21rocsparse_index_base_b,@function
_ZN9rocsparseL29bsrmmnt_small_blockdim_kernelILj64ELj16ELj2EiiaaffEEv20rocsparse_direction_T3_S2_llNS_24const_host_device_scalarIT7_EEPKT2_PKS2_PKT4_PKT5_llS5_PT6_ll16rocsparse_order_21rocsparse_index_base_b: ; @_ZN9rocsparseL29bsrmmnt_small_blockdim_kernelILj64ELj16ELj2EiiaaffEEv20rocsparse_direction_T3_S2_llNS_24const_host_device_scalarIT7_EEPKT2_PKS2_PKT4_PKT5_llS5_PT6_ll16rocsparse_order_21rocsparse_index_base_b
; %bb.0:
	s_load_dwordx4 s[16:19], s[4:5], 0x78
	s_load_dwordx2 s[28:29], s[4:5], 0x20
	s_load_dwordx2 s[30:31], s[4:5], 0x58
	s_waitcnt lgkmcnt(0)
	s_bitcmp1_b32 s18, 0
	s_cselect_b64 s[2:3], -1, 0
	s_xor_b64 s[0:1], s[2:3], -1
	s_and_b64 vcc, exec, s[2:3]
	s_cbranch_vccnz .LBB94_2
; %bb.1:
	s_load_dword s28, s[28:29], 0x0
.LBB94_2:
	s_andn2_b64 vcc, exec, s[0:1]
	s_cbranch_vccnz .LBB94_4
; %bb.3:
	s_load_dword s30, s[30:31], 0x0
.LBB94_4:
	s_waitcnt lgkmcnt(0)
	v_cmp_eq_f32_e64 s[0:1], s28, 0
	v_cmp_eq_f32_e64 s[2:3], s30, 1.0
	s_and_b64 s[0:1], s[0:1], s[2:3]
	s_and_b64 vcc, exec, s[0:1]
	s_cbranch_vccnz .LBB94_30
; %bb.5:
	s_load_dword s0, s[4:5], 0x94
	s_load_dwordx4 s[20:23], s[4:5], 0x0
	s_waitcnt lgkmcnt(0)
	s_and_b32 s0, s0, 0xffff
	s_mul_i32 s6, s6, s0
	v_add_u32_e32 v1, s6, v0
	v_lshrrev_b32_e32 v2, 5, v1
	v_cmp_gt_i32_e32 vcc, s21, v2
	s_and_saveexec_b64 s[0:1], vcc
	s_cbranch_execz .LBB94_30
; %bb.6:
	s_cmp_lt_i32 s22, 1
	s_cbranch_scc1 .LBB94_30
; %bb.7:
	s_load_dwordx8 s[8:15], s[4:5], 0x28
	v_lshlrev_b32_e32 v2, 2, v2
	s_cmp_lg_u32 s16, 1
	v_and_b32_e32 v6, 15, v0
	v_lshrrev_b32_e32 v0, 4, v0
	s_waitcnt lgkmcnt(0)
	global_load_dwordx2 v[2:3], v2, s[8:9]
	s_load_dwordx4 s[24:27], s[4:5], 0x60
	s_load_dwordx2 s[6:7], s[4:5], 0x48
	s_cselect_b64 s[8:9], -1, 0
	s_cmp_eq_u32 s20, 0
	v_lshrrev_b32_e32 v5, 4, v1
	v_lshlrev_b32_e32 v7, 6, v0
	v_mul_u32_u24_e32 v0, 48, v0
	s_cselect_b64 s[0:1], -1, 0
	v_bfe_u32 v17, v1, 4, 1
	v_or_b32_e32 v9, 0x100, v0
	v_cndmask_b32_e64 v18, 0, 1, s[0:1]
	s_and_b64 s[0:1], s[0:1], exec
	s_waitcnt lgkmcnt(0)
	v_mad_u64_u32 v[0:1], s[0:1], v5, s26, 0
	v_mov_b32_e32 v4, v1
	v_lshlrev_b32_e32 v11, 2, v5
	v_mad_u64_u32 v[4:5], s[0:1], v5, s27, v[4:5]
	v_mov_b32_e32 v14, s25
	v_add_co_u32_e32 v11, vcc, s24, v11
	v_mov_b32_e32 v1, v4
	v_addc_co_u32_e32 v12, vcc, 0, v14, vcc
	v_lshlrev_b64 v[0:1], 2, v[0:1]
	v_add_co_u32_e32 v13, vcc, s24, v0
	s_mov_b32 s16, 0
	v_cmp_neq_f32_e64 s[4:5], s30, 0
	v_lshl_or_b32 v8, v6, 2, v7
	v_mad_u32_u24 v10, v6, 3, v9
	s_cselect_b32 s23, 1, 2
	v_addc_co_u32_e32 v14, vcc, v14, v1, vcc
	v_lshlrev_b32_e32 v17, v18, v17
	s_waitcnt vmcnt(0)
	v_subrev_u32_e32 v15, s17, v2
	v_subrev_u32_e32 v16, s17, v3
	v_cmp_lt_i32_e64 s[0:1], v2, v3
	s_branch .LBB94_9
.LBB94_8:                               ;   in Loop: Header=BB94_9 Depth=1
	s_or_b64 exec, exec, s[2:3]
	s_add_i32 s16, s16, 16
	s_cmp_lt_i32 s16, s22
	s_cbranch_scc0 .LBB94_30
.LBB94_9:                               ; =>This Loop Header: Depth=1
                                        ;     Child Loop BB94_12 Depth 2
                                        ;       Child Loop BB94_16 Depth 3
	v_or_b32_e32 v0, s16, v6
	v_ashrrev_i32_e32 v1, 31, v0
	v_mov_b32_e32 v18, 0
	s_and_saveexec_b64 s[18:19], s[0:1]
	s_cbranch_execz .LBB94_18
; %bb.10:                               ;   in Loop: Header=BB94_9 Depth=1
	v_mov_b32_e32 v3, s15
	v_add_co_u32_e64 v2, s[2:3], s14, v0
	v_cmp_gt_i32_e32 vcc, s22, v0
	v_addc_co_u32_e64 v3, s[2:3], v3, v1, s[2:3]
	s_mov_b64 s[20:21], 0
	v_mov_b32_e32 v18, 0
	v_mov_b32_e32 v19, v15
	s_branch .LBB94_12
.LBB94_11:                              ;   in Loop: Header=BB94_12 Depth=2
	s_or_b64 exec, exec, s[2:3]
	v_add_u32_e32 v19, 16, v19
	v_cmp_ge_i32_e64 s[2:3], v19, v16
	s_or_b64 s[20:21], s[2:3], s[20:21]
	s_andn2_b64 exec, exec, s[20:21]
	s_cbranch_execz .LBB94_17
.LBB94_12:                              ;   Parent Loop BB94_9 Depth=1
                                        ; =>  This Loop Header: Depth=2
                                        ;       Child Loop BB94_16 Depth 3
	v_add_u32_e32 v4, v19, v6
	v_cmp_lt_i32_e64 s[2:3], v4, v16
	v_mov_b32_e32 v20, 0
	v_mov_b32_e32 v5, 0
	v_mov_b32_e32 v21, 0
	s_and_saveexec_b64 s[24:25], s[2:3]
	s_cbranch_execz .LBB94_14
; %bb.13:                               ;   in Loop: Header=BB94_12 Depth=2
	v_ashrrev_i32_e32 v5, 31, v4
	v_lshlrev_b64 v[20:21], 2, v[4:5]
	v_lshl_or_b32 v4, v4, 2, v17
	v_or_b32_e32 v22, s23, v4
	global_load_sbyte v22, v22, s[12:13]
	v_mov_b32_e32 v5, s11
	v_add_co_u32_e64 v20, s[2:3], s10, v20
	v_addc_co_u32_e64 v21, s[2:3], v5, v21, s[2:3]
	global_load_dword v23, v[20:21], off
	global_load_ubyte v5, v4, s[12:13]
	s_waitcnt vmcnt(2)
	v_cvt_f32_i32_e32 v21, v22
	s_waitcnt vmcnt(1)
	v_subrev_u32_e32 v4, s17, v23
	v_lshlrev_b32_e32 v20, 1, v4
.LBB94_14:                              ;   in Loop: Header=BB94_12 Depth=2
	s_or_b64 exec, exec, s[24:25]
	v_cvt_i32_f32_e32 v4, v21
	ds_write_b32 v8, v20
	s_waitcnt vmcnt(0)
	ds_write_b8 v10, v5
	ds_write_b8 v10, v4 offset:1
	s_waitcnt lgkmcnt(0)
	; wave barrier
	s_waitcnt lgkmcnt(0)
	s_and_saveexec_b64 s[2:3], vcc
	s_cbranch_execz .LBB94_11
; %bb.15:                               ;   in Loop: Header=BB94_12 Depth=2
	s_mov_b32 s24, 0
	v_mov_b32_e32 v4, v9
.LBB94_16:                              ;   Parent Loop BB94_9 Depth=1
                                        ;     Parent Loop BB94_12 Depth=2
                                        ; =>    This Inner Loop Header: Depth=3
	v_add_u32_e32 v5, s24, v7
	ds_read_b64 v[20:21], v5
	s_add_i32 s24, s24, 8
	s_cmp_lg_u32 s24, 64
	s_waitcnt lgkmcnt(0)
	v_ashrrev_i32_e32 v5, 31, v20
	v_mul_lo_u32 v28, v20, s7
	v_mad_u64_u32 v[22:23], s[34:35], v20, s6, v[2:3]
	v_add_u32_e32 v20, 1, v20
	v_add_u32_e32 v27, 1, v21
	v_ashrrev_i32_e32 v26, 31, v21
	v_mul_lo_u32 v5, v5, s6
	v_ashrrev_i32_e32 v30, 31, v20
	v_ashrrev_i32_e32 v33, 31, v27
	v_mul_lo_u32 v29, v21, s7
	v_mad_u64_u32 v[24:25], s[34:35], v21, s6, v[2:3]
	v_mul_lo_u32 v31, v20, s7
	v_mad_u64_u32 v[20:21], s[34:35], v20, s6, v[2:3]
	v_mul_lo_u32 v32, v26, s6
	v_mul_lo_u32 v34, v27, s7
	v_mad_u64_u32 v[26:27], s[34:35], v27, s6, v[2:3]
	v_add3_u32 v23, v5, v23, v28
	v_mul_lo_u32 v5, v30, s6
	v_mul_lo_u32 v28, v33, s6
	v_add3_u32 v25, v32, v25, v29
	v_add3_u32 v21, v5, v21, v31
	;; [unrolled: 1-line block ×3, first 2 shown]
	global_load_sbyte v5, v[22:23], off
	global_load_sbyte v28, v[20:21], off
	;; [unrolled: 1-line block ×4, first 2 shown]
	ds_read_u16 v20, v4
	ds_read_i8 v21, v4 offset:3
	ds_read_i8 v22, v4 offset:4
	v_add_u32_e32 v4, 6, v4
	s_waitcnt lgkmcnt(2)
	v_bfe_i32 v23, v20, 0, 8
	v_ashrrev_i16_e32 v20, 8, v20
	v_cvt_f32_i32_sdwa v23, sext(v23) dst_sel:DWORD dst_unused:UNUSED_PAD src0_sel:WORD_0
	v_cvt_f32_i32_sdwa v20, sext(v20) dst_sel:DWORD dst_unused:UNUSED_PAD src0_sel:WORD_0
	s_waitcnt lgkmcnt(1)
	v_cvt_f32_i32_e32 v21, v21
	s_waitcnt lgkmcnt(0)
	v_cvt_f32_i32_e32 v22, v22
	s_waitcnt vmcnt(3)
	v_cvt_f32_i32_e32 v5, v5
	s_waitcnt vmcnt(2)
	;; [unrolled: 2-line block ×4, first 2 shown]
	v_cvt_f32_i32_e32 v26, v30
	v_fmac_f32_e32 v18, v23, v5
	v_fmac_f32_e32 v18, v20, v24
	;; [unrolled: 1-line block ×4, first 2 shown]
	s_cbranch_scc1 .LBB94_16
	s_branch .LBB94_11
.LBB94_17:                              ;   in Loop: Header=BB94_9 Depth=1
	s_or_b64 exec, exec, s[20:21]
.LBB94_18:                              ;   in Loop: Header=BB94_9 Depth=1
	s_or_b64 exec, exec, s[18:19]
	v_cmp_gt_i32_e32 vcc, s22, v0
	s_and_saveexec_b64 s[2:3], vcc
	s_cbranch_execz .LBB94_8
; %bb.19:                               ;   in Loop: Header=BB94_9 Depth=1
	s_mov_b64 s[18:19], -1
	s_and_b64 vcc, exec, s[4:5]
	s_cbranch_vccz .LBB94_25
; %bb.20:                               ;   in Loop: Header=BB94_9 Depth=1
	s_and_b64 vcc, exec, s[8:9]
	s_cbranch_vccz .LBB94_22
; %bb.21:                               ;   in Loop: Header=BB94_9 Depth=1
	v_lshlrev_b64 v[2:3], 2, v[0:1]
	v_add_co_u32_e32 v2, vcc, v13, v2
	v_addc_co_u32_e32 v3, vcc, v14, v3, vcc
	global_load_dword v4, v[2:3], off
	v_mul_f32_e32 v5, s28, v18
	s_mov_b64 s[18:19], 0
	s_waitcnt vmcnt(0)
	v_fmac_f32_e32 v5, s30, v4
	global_store_dword v[2:3], v5, off
.LBB94_22:                              ;   in Loop: Header=BB94_9 Depth=1
	s_andn2_b64 vcc, exec, s[18:19]
	s_cbranch_vccnz .LBB94_24
; %bb.23:                               ;   in Loop: Header=BB94_9 Depth=1
	v_mul_lo_u32 v4, v1, s26
	v_mul_lo_u32 v5, v0, s27
	v_mad_u64_u32 v[2:3], s[18:19], v0, s26, 0
	v_add3_u32 v3, v3, v5, v4
	v_lshlrev_b64 v[2:3], 2, v[2:3]
	v_add_co_u32_e32 v2, vcc, v11, v2
	v_addc_co_u32_e32 v3, vcc, v12, v3, vcc
	global_load_dword v4, v[2:3], off
	v_mul_f32_e32 v5, s28, v18
	s_waitcnt vmcnt(0)
	v_fmac_f32_e32 v5, s30, v4
	global_store_dword v[2:3], v5, off
.LBB94_24:                              ;   in Loop: Header=BB94_9 Depth=1
	s_mov_b64 s[18:19], 0
.LBB94_25:                              ;   in Loop: Header=BB94_9 Depth=1
	s_andn2_b64 vcc, exec, s[18:19]
	s_cbranch_vccnz .LBB94_8
; %bb.26:                               ;   in Loop: Header=BB94_9 Depth=1
	v_mul_f32_e32 v2, s28, v18
	s_mov_b64 s[18:19], -1
	s_and_b64 vcc, exec, s[8:9]
	s_cbranch_vccz .LBB94_28
; %bb.27:                               ;   in Loop: Header=BB94_9 Depth=1
	v_lshlrev_b64 v[4:5], 2, v[0:1]
	v_add_co_u32_e32 v4, vcc, v13, v4
	v_addc_co_u32_e32 v5, vcc, v14, v5, vcc
	global_store_dword v[4:5], v2, off
	s_mov_b64 s[18:19], 0
.LBB94_28:                              ;   in Loop: Header=BB94_9 Depth=1
	s_andn2_b64 vcc, exec, s[18:19]
	s_cbranch_vccnz .LBB94_8
; %bb.29:                               ;   in Loop: Header=BB94_9 Depth=1
	v_mul_lo_u32 v3, v1, s26
	v_mul_lo_u32 v4, v0, s27
	v_mad_u64_u32 v[0:1], s[18:19], v0, s26, 0
	v_add3_u32 v1, v1, v4, v3
	v_lshlrev_b64 v[0:1], 2, v[0:1]
	v_add_co_u32_e32 v0, vcc, v11, v0
	v_addc_co_u32_e32 v1, vcc, v12, v1, vcc
	global_store_dword v[0:1], v2, off
	s_branch .LBB94_8
.LBB94_30:
	s_endpgm
	.section	.rodata,"a",@progbits
	.p2align	6, 0x0
	.amdhsa_kernel _ZN9rocsparseL29bsrmmnt_small_blockdim_kernelILj64ELj16ELj2EiiaaffEEv20rocsparse_direction_T3_S2_llNS_24const_host_device_scalarIT7_EEPKT2_PKS2_PKT4_PKT5_llS5_PT6_ll16rocsparse_order_21rocsparse_index_base_b
		.amdhsa_group_segment_fixed_size 448
		.amdhsa_private_segment_fixed_size 0
		.amdhsa_kernarg_size 392
		.amdhsa_user_sgpr_count 6
		.amdhsa_user_sgpr_private_segment_buffer 1
		.amdhsa_user_sgpr_dispatch_ptr 0
		.amdhsa_user_sgpr_queue_ptr 0
		.amdhsa_user_sgpr_kernarg_segment_ptr 1
		.amdhsa_user_sgpr_dispatch_id 0
		.amdhsa_user_sgpr_flat_scratch_init 0
		.amdhsa_user_sgpr_kernarg_preload_length 0
		.amdhsa_user_sgpr_kernarg_preload_offset 0
		.amdhsa_user_sgpr_private_segment_size 0
		.amdhsa_uses_dynamic_stack 0
		.amdhsa_system_sgpr_private_segment_wavefront_offset 0
		.amdhsa_system_sgpr_workgroup_id_x 1
		.amdhsa_system_sgpr_workgroup_id_y 0
		.amdhsa_system_sgpr_workgroup_id_z 0
		.amdhsa_system_sgpr_workgroup_info 0
		.amdhsa_system_vgpr_workitem_id 0
		.amdhsa_next_free_vgpr 35
		.amdhsa_next_free_sgpr 36
		.amdhsa_accum_offset 36
		.amdhsa_reserve_vcc 1
		.amdhsa_reserve_flat_scratch 0
		.amdhsa_float_round_mode_32 0
		.amdhsa_float_round_mode_16_64 0
		.amdhsa_float_denorm_mode_32 3
		.amdhsa_float_denorm_mode_16_64 3
		.amdhsa_dx10_clamp 1
		.amdhsa_ieee_mode 1
		.amdhsa_fp16_overflow 0
		.amdhsa_tg_split 0
		.amdhsa_exception_fp_ieee_invalid_op 0
		.amdhsa_exception_fp_denorm_src 0
		.amdhsa_exception_fp_ieee_div_zero 0
		.amdhsa_exception_fp_ieee_overflow 0
		.amdhsa_exception_fp_ieee_underflow 0
		.amdhsa_exception_fp_ieee_inexact 0
		.amdhsa_exception_int_div_zero 0
	.end_amdhsa_kernel
	.section	.text._ZN9rocsparseL29bsrmmnt_small_blockdim_kernelILj64ELj16ELj2EiiaaffEEv20rocsparse_direction_T3_S2_llNS_24const_host_device_scalarIT7_EEPKT2_PKS2_PKT4_PKT5_llS5_PT6_ll16rocsparse_order_21rocsparse_index_base_b,"axG",@progbits,_ZN9rocsparseL29bsrmmnt_small_blockdim_kernelILj64ELj16ELj2EiiaaffEEv20rocsparse_direction_T3_S2_llNS_24const_host_device_scalarIT7_EEPKT2_PKS2_PKT4_PKT5_llS5_PT6_ll16rocsparse_order_21rocsparse_index_base_b,comdat
.Lfunc_end94:
	.size	_ZN9rocsparseL29bsrmmnt_small_blockdim_kernelILj64ELj16ELj2EiiaaffEEv20rocsparse_direction_T3_S2_llNS_24const_host_device_scalarIT7_EEPKT2_PKS2_PKT4_PKT5_llS5_PT6_ll16rocsparse_order_21rocsparse_index_base_b, .Lfunc_end94-_ZN9rocsparseL29bsrmmnt_small_blockdim_kernelILj64ELj16ELj2EiiaaffEEv20rocsparse_direction_T3_S2_llNS_24const_host_device_scalarIT7_EEPKT2_PKS2_PKT4_PKT5_llS5_PT6_ll16rocsparse_order_21rocsparse_index_base_b
                                        ; -- End function
	.section	.AMDGPU.csdata,"",@progbits
; Kernel info:
; codeLenInByte = 1312
; NumSgprs: 40
; NumVgprs: 35
; NumAgprs: 0
; TotalNumVgprs: 35
; ScratchSize: 0
; MemoryBound: 0
; FloatMode: 240
; IeeeMode: 1
; LDSByteSize: 448 bytes/workgroup (compile time only)
; SGPRBlocks: 4
; VGPRBlocks: 4
; NumSGPRsForWavesPerEU: 40
; NumVGPRsForWavesPerEU: 35
; AccumOffset: 36
; Occupancy: 8
; WaveLimiterHint : 0
; COMPUTE_PGM_RSRC2:SCRATCH_EN: 0
; COMPUTE_PGM_RSRC2:USER_SGPR: 6
; COMPUTE_PGM_RSRC2:TRAP_HANDLER: 0
; COMPUTE_PGM_RSRC2:TGID_X_EN: 1
; COMPUTE_PGM_RSRC2:TGID_Y_EN: 0
; COMPUTE_PGM_RSRC2:TGID_Z_EN: 0
; COMPUTE_PGM_RSRC2:TIDIG_COMP_CNT: 0
; COMPUTE_PGM_RSRC3_GFX90A:ACCUM_OFFSET: 8
; COMPUTE_PGM_RSRC3_GFX90A:TG_SPLIT: 0
	.section	.text._ZN9rocsparseL29bsrmmnt_small_blockdim_kernelILj64ELj32ELj2EiiaaffEEv20rocsparse_direction_T3_S2_llNS_24const_host_device_scalarIT7_EEPKT2_PKS2_PKT4_PKT5_llS5_PT6_ll16rocsparse_order_21rocsparse_index_base_b,"axG",@progbits,_ZN9rocsparseL29bsrmmnt_small_blockdim_kernelILj64ELj32ELj2EiiaaffEEv20rocsparse_direction_T3_S2_llNS_24const_host_device_scalarIT7_EEPKT2_PKS2_PKT4_PKT5_llS5_PT6_ll16rocsparse_order_21rocsparse_index_base_b,comdat
	.globl	_ZN9rocsparseL29bsrmmnt_small_blockdim_kernelILj64ELj32ELj2EiiaaffEEv20rocsparse_direction_T3_S2_llNS_24const_host_device_scalarIT7_EEPKT2_PKS2_PKT4_PKT5_llS5_PT6_ll16rocsparse_order_21rocsparse_index_base_b ; -- Begin function _ZN9rocsparseL29bsrmmnt_small_blockdim_kernelILj64ELj32ELj2EiiaaffEEv20rocsparse_direction_T3_S2_llNS_24const_host_device_scalarIT7_EEPKT2_PKS2_PKT4_PKT5_llS5_PT6_ll16rocsparse_order_21rocsparse_index_base_b
	.p2align	8
	.type	_ZN9rocsparseL29bsrmmnt_small_blockdim_kernelILj64ELj32ELj2EiiaaffEEv20rocsparse_direction_T3_S2_llNS_24const_host_device_scalarIT7_EEPKT2_PKS2_PKT4_PKT5_llS5_PT6_ll16rocsparse_order_21rocsparse_index_base_b,@function
_ZN9rocsparseL29bsrmmnt_small_blockdim_kernelILj64ELj32ELj2EiiaaffEEv20rocsparse_direction_T3_S2_llNS_24const_host_device_scalarIT7_EEPKT2_PKS2_PKT4_PKT5_llS5_PT6_ll16rocsparse_order_21rocsparse_index_base_b: ; @_ZN9rocsparseL29bsrmmnt_small_blockdim_kernelILj64ELj32ELj2EiiaaffEEv20rocsparse_direction_T3_S2_llNS_24const_host_device_scalarIT7_EEPKT2_PKS2_PKT4_PKT5_llS5_PT6_ll16rocsparse_order_21rocsparse_index_base_b
; %bb.0:
	s_load_dwordx4 s[16:19], s[4:5], 0x78
	s_load_dwordx2 s[28:29], s[4:5], 0x20
	s_load_dwordx2 s[30:31], s[4:5], 0x58
	s_waitcnt lgkmcnt(0)
	s_bitcmp1_b32 s18, 0
	s_cselect_b64 s[2:3], -1, 0
	s_xor_b64 s[0:1], s[2:3], -1
	s_and_b64 vcc, exec, s[2:3]
	s_cbranch_vccnz .LBB95_2
; %bb.1:
	s_load_dword s28, s[28:29], 0x0
.LBB95_2:
	s_andn2_b64 vcc, exec, s[0:1]
	s_cbranch_vccnz .LBB95_4
; %bb.3:
	s_load_dword s30, s[30:31], 0x0
.LBB95_4:
	s_waitcnt lgkmcnt(0)
	v_cmp_eq_f32_e64 s[0:1], s28, 0
	v_cmp_eq_f32_e64 s[2:3], s30, 1.0
	s_and_b64 s[0:1], s[0:1], s[2:3]
	s_and_b64 vcc, exec, s[0:1]
	s_cbranch_vccnz .LBB95_30
; %bb.5:
	s_load_dword s0, s[4:5], 0x94
	s_load_dwordx4 s[20:23], s[4:5], 0x0
	s_waitcnt lgkmcnt(0)
	s_and_b32 s0, s0, 0xffff
	s_mul_i32 s6, s6, s0
	v_add_u32_e32 v1, s6, v0
	v_lshrrev_b32_e32 v2, 6, v1
	v_cmp_gt_i32_e32 vcc, s21, v2
	s_and_saveexec_b64 s[0:1], vcc
	s_cbranch_execz .LBB95_30
; %bb.6:
	s_cmp_lt_i32 s22, 1
	s_cbranch_scc1 .LBB95_30
; %bb.7:
	s_load_dwordx8 s[8:15], s[4:5], 0x28
	v_lshlrev_b32_e32 v2, 2, v2
	s_cmp_lg_u32 s16, 1
	v_and_b32_e32 v6, 31, v0
	v_lshrrev_b32_e32 v0, 5, v0
	s_waitcnt lgkmcnt(0)
	global_load_dwordx2 v[2:3], v2, s[8:9]
	s_load_dwordx4 s[24:27], s[4:5], 0x60
	s_load_dwordx2 s[6:7], s[4:5], 0x48
	s_cselect_b64 s[8:9], -1, 0
	s_cmp_eq_u32 s20, 0
	v_lshrrev_b32_e32 v5, 5, v1
	v_lshlrev_b32_e32 v7, 7, v0
	v_mul_u32_u24_e32 v0, 0x60, v0
	s_cselect_b64 s[0:1], -1, 0
	v_bfe_u32 v17, v1, 5, 1
	v_or_b32_e32 v9, 0x100, v0
	v_cndmask_b32_e64 v18, 0, 1, s[0:1]
	s_and_b64 s[0:1], s[0:1], exec
	s_waitcnt lgkmcnt(0)
	v_mad_u64_u32 v[0:1], s[0:1], v5, s26, 0
	v_mov_b32_e32 v4, v1
	v_lshlrev_b32_e32 v11, 2, v5
	v_mad_u64_u32 v[4:5], s[0:1], v5, s27, v[4:5]
	v_mov_b32_e32 v14, s25
	v_add_co_u32_e32 v11, vcc, s24, v11
	v_mov_b32_e32 v1, v4
	v_addc_co_u32_e32 v12, vcc, 0, v14, vcc
	v_lshlrev_b64 v[0:1], 2, v[0:1]
	v_add_co_u32_e32 v13, vcc, s24, v0
	s_mov_b32 s16, 0
	v_cmp_neq_f32_e64 s[4:5], s30, 0
	v_lshl_or_b32 v8, v6, 2, v7
	v_mad_u32_u24 v10, v6, 3, v9
	s_cselect_b32 s23, 1, 2
	v_addc_co_u32_e32 v14, vcc, v14, v1, vcc
	v_lshlrev_b32_e32 v17, v18, v17
	s_waitcnt vmcnt(0)
	v_subrev_u32_e32 v15, s17, v2
	v_subrev_u32_e32 v16, s17, v3
	v_cmp_lt_i32_e64 s[0:1], v2, v3
	s_branch .LBB95_9
.LBB95_8:                               ;   in Loop: Header=BB95_9 Depth=1
	s_or_b64 exec, exec, s[2:3]
	s_add_i32 s16, s16, 32
	s_cmp_lt_i32 s16, s22
	s_cbranch_scc0 .LBB95_30
.LBB95_9:                               ; =>This Loop Header: Depth=1
                                        ;     Child Loop BB95_12 Depth 2
                                        ;       Child Loop BB95_16 Depth 3
	v_or_b32_e32 v0, s16, v6
	v_ashrrev_i32_e32 v1, 31, v0
	v_mov_b32_e32 v18, 0
	s_and_saveexec_b64 s[18:19], s[0:1]
	s_cbranch_execz .LBB95_18
; %bb.10:                               ;   in Loop: Header=BB95_9 Depth=1
	v_mov_b32_e32 v3, s15
	v_add_co_u32_e64 v2, s[2:3], s14, v0
	v_cmp_gt_i32_e32 vcc, s22, v0
	v_addc_co_u32_e64 v3, s[2:3], v3, v1, s[2:3]
	s_mov_b64 s[20:21], 0
	v_mov_b32_e32 v18, 0
	v_mov_b32_e32 v19, v15
	s_branch .LBB95_12
.LBB95_11:                              ;   in Loop: Header=BB95_12 Depth=2
	s_or_b64 exec, exec, s[2:3]
	v_add_u32_e32 v19, 32, v19
	v_cmp_ge_i32_e64 s[2:3], v19, v16
	s_or_b64 s[20:21], s[2:3], s[20:21]
	s_andn2_b64 exec, exec, s[20:21]
	s_cbranch_execz .LBB95_17
.LBB95_12:                              ;   Parent Loop BB95_9 Depth=1
                                        ; =>  This Loop Header: Depth=2
                                        ;       Child Loop BB95_16 Depth 3
	v_add_u32_e32 v4, v19, v6
	v_cmp_lt_i32_e64 s[2:3], v4, v16
	v_mov_b32_e32 v20, 0
	v_mov_b32_e32 v5, 0
	;; [unrolled: 1-line block ×3, first 2 shown]
	s_and_saveexec_b64 s[24:25], s[2:3]
	s_cbranch_execz .LBB95_14
; %bb.13:                               ;   in Loop: Header=BB95_12 Depth=2
	v_ashrrev_i32_e32 v5, 31, v4
	v_lshlrev_b64 v[20:21], 2, v[4:5]
	v_lshl_or_b32 v4, v4, 2, v17
	v_or_b32_e32 v22, s23, v4
	global_load_sbyte v22, v22, s[12:13]
	v_mov_b32_e32 v5, s11
	v_add_co_u32_e64 v20, s[2:3], s10, v20
	v_addc_co_u32_e64 v21, s[2:3], v5, v21, s[2:3]
	global_load_dword v23, v[20:21], off
	global_load_ubyte v5, v4, s[12:13]
	s_waitcnt vmcnt(2)
	v_cvt_f32_i32_e32 v21, v22
	s_waitcnt vmcnt(1)
	v_subrev_u32_e32 v4, s17, v23
	v_lshlrev_b32_e32 v20, 1, v4
.LBB95_14:                              ;   in Loop: Header=BB95_12 Depth=2
	s_or_b64 exec, exec, s[24:25]
	v_cvt_i32_f32_e32 v4, v21
	ds_write_b32 v8, v20
	s_waitcnt vmcnt(0)
	ds_write_b8 v10, v5
	ds_write_b8 v10, v4 offset:1
	s_waitcnt lgkmcnt(0)
	; wave barrier
	s_waitcnt lgkmcnt(0)
	s_and_saveexec_b64 s[2:3], vcc
	s_cbranch_execz .LBB95_11
; %bb.15:                               ;   in Loop: Header=BB95_12 Depth=2
	s_mov_b32 s24, 0
	v_mov_b32_e32 v4, v9
.LBB95_16:                              ;   Parent Loop BB95_9 Depth=1
                                        ;     Parent Loop BB95_12 Depth=2
                                        ; =>    This Inner Loop Header: Depth=3
	v_add_u32_e32 v5, s24, v7
	ds_read_b64 v[20:21], v5
	s_add_i32 s24, s24, 8
	s_cmpk_lg_i32 s24, 0x80
	s_waitcnt lgkmcnt(0)
	v_ashrrev_i32_e32 v5, 31, v20
	v_mul_lo_u32 v28, v20, s7
	v_mad_u64_u32 v[22:23], s[34:35], v20, s6, v[2:3]
	v_add_u32_e32 v20, 1, v20
	v_add_u32_e32 v27, 1, v21
	v_ashrrev_i32_e32 v26, 31, v21
	v_mul_lo_u32 v5, v5, s6
	v_ashrrev_i32_e32 v30, 31, v20
	v_ashrrev_i32_e32 v33, 31, v27
	v_mul_lo_u32 v29, v21, s7
	v_mad_u64_u32 v[24:25], s[34:35], v21, s6, v[2:3]
	v_mul_lo_u32 v31, v20, s7
	v_mad_u64_u32 v[20:21], s[34:35], v20, s6, v[2:3]
	v_mul_lo_u32 v32, v26, s6
	v_mul_lo_u32 v34, v27, s7
	v_mad_u64_u32 v[26:27], s[34:35], v27, s6, v[2:3]
	v_add3_u32 v23, v5, v23, v28
	v_mul_lo_u32 v5, v30, s6
	v_mul_lo_u32 v28, v33, s6
	v_add3_u32 v25, v32, v25, v29
	v_add3_u32 v21, v5, v21, v31
	v_add3_u32 v27, v28, v27, v34
	global_load_sbyte v5, v[22:23], off
	global_load_sbyte v28, v[20:21], off
	;; [unrolled: 1-line block ×4, first 2 shown]
	ds_read_u16 v20, v4
	ds_read_i8 v21, v4 offset:3
	ds_read_i8 v22, v4 offset:4
	v_add_u32_e32 v4, 6, v4
	s_waitcnt lgkmcnt(2)
	v_bfe_i32 v23, v20, 0, 8
	v_ashrrev_i16_e32 v20, 8, v20
	v_cvt_f32_i32_sdwa v23, sext(v23) dst_sel:DWORD dst_unused:UNUSED_PAD src0_sel:WORD_0
	v_cvt_f32_i32_sdwa v20, sext(v20) dst_sel:DWORD dst_unused:UNUSED_PAD src0_sel:WORD_0
	s_waitcnt lgkmcnt(1)
	v_cvt_f32_i32_e32 v21, v21
	s_waitcnt lgkmcnt(0)
	v_cvt_f32_i32_e32 v22, v22
	s_waitcnt vmcnt(3)
	v_cvt_f32_i32_e32 v5, v5
	s_waitcnt vmcnt(2)
	;; [unrolled: 2-line block ×4, first 2 shown]
	v_cvt_f32_i32_e32 v26, v30
	v_fmac_f32_e32 v18, v23, v5
	v_fmac_f32_e32 v18, v20, v24
	;; [unrolled: 1-line block ×4, first 2 shown]
	s_cbranch_scc1 .LBB95_16
	s_branch .LBB95_11
.LBB95_17:                              ;   in Loop: Header=BB95_9 Depth=1
	s_or_b64 exec, exec, s[20:21]
.LBB95_18:                              ;   in Loop: Header=BB95_9 Depth=1
	s_or_b64 exec, exec, s[18:19]
	v_cmp_gt_i32_e32 vcc, s22, v0
	s_and_saveexec_b64 s[2:3], vcc
	s_cbranch_execz .LBB95_8
; %bb.19:                               ;   in Loop: Header=BB95_9 Depth=1
	s_mov_b64 s[18:19], -1
	s_and_b64 vcc, exec, s[4:5]
	s_cbranch_vccz .LBB95_25
; %bb.20:                               ;   in Loop: Header=BB95_9 Depth=1
	s_and_b64 vcc, exec, s[8:9]
	s_cbranch_vccz .LBB95_22
; %bb.21:                               ;   in Loop: Header=BB95_9 Depth=1
	v_lshlrev_b64 v[2:3], 2, v[0:1]
	v_add_co_u32_e32 v2, vcc, v13, v2
	v_addc_co_u32_e32 v3, vcc, v14, v3, vcc
	global_load_dword v4, v[2:3], off
	v_mul_f32_e32 v5, s28, v18
	s_mov_b64 s[18:19], 0
	s_waitcnt vmcnt(0)
	v_fmac_f32_e32 v5, s30, v4
	global_store_dword v[2:3], v5, off
.LBB95_22:                              ;   in Loop: Header=BB95_9 Depth=1
	s_andn2_b64 vcc, exec, s[18:19]
	s_cbranch_vccnz .LBB95_24
; %bb.23:                               ;   in Loop: Header=BB95_9 Depth=1
	v_mul_lo_u32 v4, v1, s26
	v_mul_lo_u32 v5, v0, s27
	v_mad_u64_u32 v[2:3], s[18:19], v0, s26, 0
	v_add3_u32 v3, v3, v5, v4
	v_lshlrev_b64 v[2:3], 2, v[2:3]
	v_add_co_u32_e32 v2, vcc, v11, v2
	v_addc_co_u32_e32 v3, vcc, v12, v3, vcc
	global_load_dword v4, v[2:3], off
	v_mul_f32_e32 v5, s28, v18
	s_waitcnt vmcnt(0)
	v_fmac_f32_e32 v5, s30, v4
	global_store_dword v[2:3], v5, off
.LBB95_24:                              ;   in Loop: Header=BB95_9 Depth=1
	s_mov_b64 s[18:19], 0
.LBB95_25:                              ;   in Loop: Header=BB95_9 Depth=1
	s_andn2_b64 vcc, exec, s[18:19]
	s_cbranch_vccnz .LBB95_8
; %bb.26:                               ;   in Loop: Header=BB95_9 Depth=1
	v_mul_f32_e32 v2, s28, v18
	s_mov_b64 s[18:19], -1
	s_and_b64 vcc, exec, s[8:9]
	s_cbranch_vccz .LBB95_28
; %bb.27:                               ;   in Loop: Header=BB95_9 Depth=1
	v_lshlrev_b64 v[4:5], 2, v[0:1]
	v_add_co_u32_e32 v4, vcc, v13, v4
	v_addc_co_u32_e32 v5, vcc, v14, v5, vcc
	global_store_dword v[4:5], v2, off
	s_mov_b64 s[18:19], 0
.LBB95_28:                              ;   in Loop: Header=BB95_9 Depth=1
	s_andn2_b64 vcc, exec, s[18:19]
	s_cbranch_vccnz .LBB95_8
; %bb.29:                               ;   in Loop: Header=BB95_9 Depth=1
	v_mul_lo_u32 v3, v1, s26
	v_mul_lo_u32 v4, v0, s27
	v_mad_u64_u32 v[0:1], s[18:19], v0, s26, 0
	v_add3_u32 v1, v1, v4, v3
	v_lshlrev_b64 v[0:1], 2, v[0:1]
	v_add_co_u32_e32 v0, vcc, v11, v0
	v_addc_co_u32_e32 v1, vcc, v12, v1, vcc
	global_store_dword v[0:1], v2, off
	s_branch .LBB95_8
.LBB95_30:
	s_endpgm
	.section	.rodata,"a",@progbits
	.p2align	6, 0x0
	.amdhsa_kernel _ZN9rocsparseL29bsrmmnt_small_blockdim_kernelILj64ELj32ELj2EiiaaffEEv20rocsparse_direction_T3_S2_llNS_24const_host_device_scalarIT7_EEPKT2_PKS2_PKT4_PKT5_llS5_PT6_ll16rocsparse_order_21rocsparse_index_base_b
		.amdhsa_group_segment_fixed_size 448
		.amdhsa_private_segment_fixed_size 0
		.amdhsa_kernarg_size 392
		.amdhsa_user_sgpr_count 6
		.amdhsa_user_sgpr_private_segment_buffer 1
		.amdhsa_user_sgpr_dispatch_ptr 0
		.amdhsa_user_sgpr_queue_ptr 0
		.amdhsa_user_sgpr_kernarg_segment_ptr 1
		.amdhsa_user_sgpr_dispatch_id 0
		.amdhsa_user_sgpr_flat_scratch_init 0
		.amdhsa_user_sgpr_kernarg_preload_length 0
		.amdhsa_user_sgpr_kernarg_preload_offset 0
		.amdhsa_user_sgpr_private_segment_size 0
		.amdhsa_uses_dynamic_stack 0
		.amdhsa_system_sgpr_private_segment_wavefront_offset 0
		.amdhsa_system_sgpr_workgroup_id_x 1
		.amdhsa_system_sgpr_workgroup_id_y 0
		.amdhsa_system_sgpr_workgroup_id_z 0
		.amdhsa_system_sgpr_workgroup_info 0
		.amdhsa_system_vgpr_workitem_id 0
		.amdhsa_next_free_vgpr 35
		.amdhsa_next_free_sgpr 36
		.amdhsa_accum_offset 36
		.amdhsa_reserve_vcc 1
		.amdhsa_reserve_flat_scratch 0
		.amdhsa_float_round_mode_32 0
		.amdhsa_float_round_mode_16_64 0
		.amdhsa_float_denorm_mode_32 3
		.amdhsa_float_denorm_mode_16_64 3
		.amdhsa_dx10_clamp 1
		.amdhsa_ieee_mode 1
		.amdhsa_fp16_overflow 0
		.amdhsa_tg_split 0
		.amdhsa_exception_fp_ieee_invalid_op 0
		.amdhsa_exception_fp_denorm_src 0
		.amdhsa_exception_fp_ieee_div_zero 0
		.amdhsa_exception_fp_ieee_overflow 0
		.amdhsa_exception_fp_ieee_underflow 0
		.amdhsa_exception_fp_ieee_inexact 0
		.amdhsa_exception_int_div_zero 0
	.end_amdhsa_kernel
	.section	.text._ZN9rocsparseL29bsrmmnt_small_blockdim_kernelILj64ELj32ELj2EiiaaffEEv20rocsparse_direction_T3_S2_llNS_24const_host_device_scalarIT7_EEPKT2_PKS2_PKT4_PKT5_llS5_PT6_ll16rocsparse_order_21rocsparse_index_base_b,"axG",@progbits,_ZN9rocsparseL29bsrmmnt_small_blockdim_kernelILj64ELj32ELj2EiiaaffEEv20rocsparse_direction_T3_S2_llNS_24const_host_device_scalarIT7_EEPKT2_PKS2_PKT4_PKT5_llS5_PT6_ll16rocsparse_order_21rocsparse_index_base_b,comdat
.Lfunc_end95:
	.size	_ZN9rocsparseL29bsrmmnt_small_blockdim_kernelILj64ELj32ELj2EiiaaffEEv20rocsparse_direction_T3_S2_llNS_24const_host_device_scalarIT7_EEPKT2_PKS2_PKT4_PKT5_llS5_PT6_ll16rocsparse_order_21rocsparse_index_base_b, .Lfunc_end95-_ZN9rocsparseL29bsrmmnt_small_blockdim_kernelILj64ELj32ELj2EiiaaffEEv20rocsparse_direction_T3_S2_llNS_24const_host_device_scalarIT7_EEPKT2_PKS2_PKT4_PKT5_llS5_PT6_ll16rocsparse_order_21rocsparse_index_base_b
                                        ; -- End function
	.section	.AMDGPU.csdata,"",@progbits
; Kernel info:
; codeLenInByte = 1316
; NumSgprs: 40
; NumVgprs: 35
; NumAgprs: 0
; TotalNumVgprs: 35
; ScratchSize: 0
; MemoryBound: 0
; FloatMode: 240
; IeeeMode: 1
; LDSByteSize: 448 bytes/workgroup (compile time only)
; SGPRBlocks: 4
; VGPRBlocks: 4
; NumSGPRsForWavesPerEU: 40
; NumVGPRsForWavesPerEU: 35
; AccumOffset: 36
; Occupancy: 8
; WaveLimiterHint : 0
; COMPUTE_PGM_RSRC2:SCRATCH_EN: 0
; COMPUTE_PGM_RSRC2:USER_SGPR: 6
; COMPUTE_PGM_RSRC2:TRAP_HANDLER: 0
; COMPUTE_PGM_RSRC2:TGID_X_EN: 1
; COMPUTE_PGM_RSRC2:TGID_Y_EN: 0
; COMPUTE_PGM_RSRC2:TGID_Z_EN: 0
; COMPUTE_PGM_RSRC2:TIDIG_COMP_CNT: 0
; COMPUTE_PGM_RSRC3_GFX90A:ACCUM_OFFSET: 8
; COMPUTE_PGM_RSRC3_GFX90A:TG_SPLIT: 0
	.section	.text._ZN9rocsparseL29bsrmmnt_small_blockdim_kernelILj64ELj64ELj2EiiaaffEEv20rocsparse_direction_T3_S2_llNS_24const_host_device_scalarIT7_EEPKT2_PKS2_PKT4_PKT5_llS5_PT6_ll16rocsparse_order_21rocsparse_index_base_b,"axG",@progbits,_ZN9rocsparseL29bsrmmnt_small_blockdim_kernelILj64ELj64ELj2EiiaaffEEv20rocsparse_direction_T3_S2_llNS_24const_host_device_scalarIT7_EEPKT2_PKS2_PKT4_PKT5_llS5_PT6_ll16rocsparse_order_21rocsparse_index_base_b,comdat
	.globl	_ZN9rocsparseL29bsrmmnt_small_blockdim_kernelILj64ELj64ELj2EiiaaffEEv20rocsparse_direction_T3_S2_llNS_24const_host_device_scalarIT7_EEPKT2_PKS2_PKT4_PKT5_llS5_PT6_ll16rocsparse_order_21rocsparse_index_base_b ; -- Begin function _ZN9rocsparseL29bsrmmnt_small_blockdim_kernelILj64ELj64ELj2EiiaaffEEv20rocsparse_direction_T3_S2_llNS_24const_host_device_scalarIT7_EEPKT2_PKS2_PKT4_PKT5_llS5_PT6_ll16rocsparse_order_21rocsparse_index_base_b
	.p2align	8
	.type	_ZN9rocsparseL29bsrmmnt_small_blockdim_kernelILj64ELj64ELj2EiiaaffEEv20rocsparse_direction_T3_S2_llNS_24const_host_device_scalarIT7_EEPKT2_PKS2_PKT4_PKT5_llS5_PT6_ll16rocsparse_order_21rocsparse_index_base_b,@function
_ZN9rocsparseL29bsrmmnt_small_blockdim_kernelILj64ELj64ELj2EiiaaffEEv20rocsparse_direction_T3_S2_llNS_24const_host_device_scalarIT7_EEPKT2_PKS2_PKT4_PKT5_llS5_PT6_ll16rocsparse_order_21rocsparse_index_base_b: ; @_ZN9rocsparseL29bsrmmnt_small_blockdim_kernelILj64ELj64ELj2EiiaaffEEv20rocsparse_direction_T3_S2_llNS_24const_host_device_scalarIT7_EEPKT2_PKS2_PKT4_PKT5_llS5_PT6_ll16rocsparse_order_21rocsparse_index_base_b
; %bb.0:
	s_load_dwordx4 s[16:19], s[4:5], 0x78
	s_load_dwordx2 s[28:29], s[4:5], 0x20
	s_load_dwordx2 s[30:31], s[4:5], 0x58
	s_waitcnt lgkmcnt(0)
	s_bitcmp1_b32 s18, 0
	s_cselect_b64 s[2:3], -1, 0
	s_xor_b64 s[0:1], s[2:3], -1
	s_and_b64 vcc, exec, s[2:3]
	s_cbranch_vccnz .LBB96_2
; %bb.1:
	s_load_dword s28, s[28:29], 0x0
.LBB96_2:
	s_andn2_b64 vcc, exec, s[0:1]
	s_cbranch_vccnz .LBB96_4
; %bb.3:
	s_load_dword s30, s[30:31], 0x0
.LBB96_4:
	s_waitcnt lgkmcnt(0)
	v_cmp_eq_f32_e64 s[0:1], s28, 0
	v_cmp_eq_f32_e64 s[2:3], s30, 1.0
	s_and_b64 s[0:1], s[0:1], s[2:3]
	s_and_b64 vcc, exec, s[0:1]
	s_cbranch_vccnz .LBB96_30
; %bb.5:
	s_load_dword s0, s[4:5], 0x94
	s_load_dwordx4 s[20:23], s[4:5], 0x0
	s_waitcnt lgkmcnt(0)
	s_and_b32 s0, s0, 0xffff
	s_mul_i32 s6, s6, s0
	v_add_u32_e32 v1, s6, v0
	v_lshrrev_b32_e32 v2, 7, v1
	v_cmp_gt_i32_e32 vcc, s21, v2
	s_and_saveexec_b64 s[0:1], vcc
	s_cbranch_execz .LBB96_30
; %bb.6:
	s_cmp_lt_i32 s22, 1
	s_cbranch_scc1 .LBB96_30
; %bb.7:
	s_load_dwordx8 s[8:15], s[4:5], 0x28
	v_lshlrev_b32_e32 v2, 2, v2
	s_cmp_lg_u32 s16, 1
	v_mul_u32_u24_e32 v5, 3, v0
	v_lshrrev_b32_e32 v7, 6, v1
	s_waitcnt lgkmcnt(0)
	global_load_dwordx2 v[2:3], v2, s[8:9]
	s_load_dwordx4 s[24:27], s[4:5], 0x60
	s_load_dwordx2 s[6:7], s[4:5], 0x48
	s_cselect_b64 s[8:9], -1, 0
	s_cmp_eq_u32 s20, 0
	s_cselect_b64 s[0:1], -1, 0
	v_bfe_u32 v4, v1, 6, 1
	v_or_b32_e32 v8, 0x100, v5
	v_cndmask_b32_e64 v5, 0, 1, s[0:1]
	s_and_b64 s[0:1], s[0:1], exec
	v_lshlrev_b32_e32 v9, v5, v4
	s_waitcnt lgkmcnt(0)
	v_mad_u64_u32 v[4:5], s[0:1], v7, s26, 0
	v_mov_b32_e32 v6, v5
	v_lshlrev_b32_e32 v10, 2, v7
	v_mad_u64_u32 v[6:7], s[0:1], v7, s27, v[6:7]
	v_mov_b32_e32 v13, s25
	v_add_co_u32_e32 v10, vcc, s24, v10
	v_mov_b32_e32 v5, v6
	v_addc_co_u32_e32 v11, vcc, 0, v13, vcc
	v_lshlrev_b64 v[4:5], 2, v[4:5]
	v_add_co_u32_e32 v12, vcc, s24, v4
	v_lshlrev_b32_e32 v1, 2, v0
	s_mov_b32 s16, 0
	v_cmp_neq_f32_e64 s[4:5], s30, 0
	s_cselect_b32 s23, 1, 2
	v_addc_co_u32_e32 v13, vcc, v13, v5, vcc
	v_mov_b32_e32 v16, s6
	s_waitcnt vmcnt(0)
	v_subrev_u32_e32 v14, s17, v2
	v_subrev_u32_e32 v15, s17, v3
	v_cmp_lt_i32_e64 s[0:1], v2, v3
	s_branch .LBB96_9
.LBB96_8:                               ;   in Loop: Header=BB96_9 Depth=1
	s_or_b64 exec, exec, s[2:3]
	s_add_i32 s16, s16, 64
	s_cmp_lt_i32 s16, s22
	s_cbranch_scc0 .LBB96_30
.LBB96_9:                               ; =>This Loop Header: Depth=1
                                        ;     Child Loop BB96_12 Depth 2
                                        ;       Child Loop BB96_16 Depth 3
	v_or_b32_e32 v2, s16, v0
	v_ashrrev_i32_e32 v3, 31, v2
	v_mov_b32_e32 v17, 0
	s_and_saveexec_b64 s[18:19], s[0:1]
	s_cbranch_execz .LBB96_18
; %bb.10:                               ;   in Loop: Header=BB96_9 Depth=1
	v_mov_b32_e32 v5, s15
	v_add_co_u32_e64 v4, s[2:3], s14, v2
	v_cmp_gt_i32_e32 vcc, s22, v2
	v_addc_co_u32_e64 v5, s[2:3], v5, v3, s[2:3]
	s_mov_b64 s[20:21], 0
	v_mov_b32_e32 v17, 0
	v_mov_b32_e32 v18, v14
	s_branch .LBB96_12
.LBB96_11:                              ;   in Loop: Header=BB96_12 Depth=2
	s_or_b64 exec, exec, s[2:3]
	v_add_u32_e32 v18, 64, v18
	v_cmp_ge_i32_e64 s[2:3], v18, v15
	s_or_b64 s[20:21], s[2:3], s[20:21]
	s_andn2_b64 exec, exec, s[20:21]
	s_cbranch_execz .LBB96_17
.LBB96_12:                              ;   Parent Loop BB96_9 Depth=1
                                        ; =>  This Loop Header: Depth=2
                                        ;       Child Loop BB96_16 Depth 3
	v_add_u32_e32 v6, v18, v0
	v_cmp_lt_i32_e64 s[2:3], v6, v15
	v_mov_b32_e32 v19, 0
	v_mov_b32_e32 v7, 0
	;; [unrolled: 1-line block ×3, first 2 shown]
	s_and_saveexec_b64 s[24:25], s[2:3]
	s_cbranch_execz .LBB96_14
; %bb.13:                               ;   in Loop: Header=BB96_12 Depth=2
	v_ashrrev_i32_e32 v7, 31, v6
	v_lshlrev_b64 v[20:21], 2, v[6:7]
	v_lshl_or_b32 v6, v6, 2, v9
	v_or_b32_e32 v19, s23, v6
	global_load_sbyte v19, v19, s[12:13]
	v_mov_b32_e32 v7, s11
	v_add_co_u32_e64 v20, s[2:3], s10, v20
	v_addc_co_u32_e64 v21, s[2:3], v7, v21, s[2:3]
	global_load_dword v22, v[20:21], off
	global_load_ubyte v7, v6, s[12:13]
	s_waitcnt vmcnt(2)
	v_cvt_f32_i32_e32 v20, v19
	s_waitcnt vmcnt(1)
	v_subrev_u32_e32 v6, s17, v22
	v_lshlrev_b32_e32 v19, 1, v6
.LBB96_14:                              ;   in Loop: Header=BB96_12 Depth=2
	s_or_b64 exec, exec, s[24:25]
	v_cvt_i32_f32_e32 v6, v20
	ds_write_b32 v1, v19
	s_waitcnt vmcnt(0)
	ds_write_b8 v8, v7
	ds_write_b8 v8, v6 offset:1
	s_waitcnt lgkmcnt(0)
	; wave barrier
	s_waitcnt lgkmcnt(0)
	s_and_saveexec_b64 s[2:3], vcc
	s_cbranch_execz .LBB96_11
; %bb.15:                               ;   in Loop: Header=BB96_12 Depth=2
	s_mov_b32 s24, 0
	v_mov_b32_e32 v6, 0x100
.LBB96_16:                              ;   Parent Loop BB96_9 Depth=1
                                        ;     Parent Loop BB96_12 Depth=2
                                        ; =>    This Inner Loop Header: Depth=3
	v_mov_b32_e32 v7, s24
	ds_read_b64 v[20:21], v7
	s_add_i32 s24, s24, 8
	s_waitcnt lgkmcnt(0)
	v_readfirstlane_b32 s25, v20
	v_readfirstlane_b32 s29, v21
	s_ashr_i32 s31, s25, 31
	s_mul_i32 s33, s25, s7
	v_mad_u64_u32 v[20:21], s[34:35], s25, v16, v[4:5]
	s_add_i32 s25, s25, 1
	s_ashr_i32 s36, s29, 31
	s_mul_i32 s37, s29, s7
	v_mad_u64_u32 v[22:23], s[34:35], s29, v16, v[4:5]
	s_add_i32 s29, s29, 1
	s_mul_i32 s31, s31, s6
	s_ashr_i32 s38, s25, 31
	s_mul_i32 s39, s25, s7
	v_mad_u64_u32 v[24:25], s[34:35], s25, v16, v[4:5]
	s_ashr_i32 s25, s29, 31
	s_mul_i32 s36, s36, s6
	s_mul_i32 s40, s29, s7
	s_add_i32 s33, s33, s31
	s_mul_i32 s38, s38, s6
	s_mul_i32 s25, s25, s6
	v_mad_u64_u32 v[26:27], s[34:35], s29, v16, v[4:5]
	s_add_i32 s37, s37, s36
	v_add_u32_e32 v21, s33, v21
	s_add_i32 s39, s39, s38
	s_add_i32 s40, s40, s25
	v_add_u32_e32 v23, s37, v23
	v_add_u32_e32 v25, s39, v25
	;; [unrolled: 1-line block ×3, first 2 shown]
	global_load_sbyte v7, v[20:21], off
	global_load_sbyte v19, v[24:25], off
	global_load_sbyte v28, v[22:23], off
	global_load_sbyte v29, v[26:27], off
	ds_read_u16 v20, v6
	ds_read_i8 v21, v6 offset:3
	ds_read_i8 v22, v6 offset:4
	v_add_u32_e32 v6, 6, v6
	s_cmpk_lg_i32 s24, 0x100
	s_waitcnt lgkmcnt(2)
	v_bfe_i32 v23, v20, 0, 8
	v_ashrrev_i16_e32 v20, 8, v20
	v_cvt_f32_i32_sdwa v23, sext(v23) dst_sel:DWORD dst_unused:UNUSED_PAD src0_sel:WORD_0
	v_cvt_f32_i32_sdwa v20, sext(v20) dst_sel:DWORD dst_unused:UNUSED_PAD src0_sel:WORD_0
	s_waitcnt lgkmcnt(1)
	v_cvt_f32_i32_e32 v21, v21
	s_waitcnt lgkmcnt(0)
	v_cvt_f32_i32_e32 v22, v22
	s_waitcnt vmcnt(3)
	v_cvt_f32_i32_e32 v7, v7
	s_waitcnt vmcnt(2)
	;; [unrolled: 2-line block ×4, first 2 shown]
	v_cvt_f32_i32_e32 v25, v29
	v_fmac_f32_e32 v17, v23, v7
	v_fmac_f32_e32 v17, v20, v19
	v_fmac_f32_e32 v17, v21, v24
	v_fmac_f32_e32 v17, v22, v25
	s_cbranch_scc1 .LBB96_16
	s_branch .LBB96_11
.LBB96_17:                              ;   in Loop: Header=BB96_9 Depth=1
	s_or_b64 exec, exec, s[20:21]
.LBB96_18:                              ;   in Loop: Header=BB96_9 Depth=1
	s_or_b64 exec, exec, s[18:19]
	v_cmp_gt_i32_e32 vcc, s22, v2
	s_and_saveexec_b64 s[2:3], vcc
	s_cbranch_execz .LBB96_8
; %bb.19:                               ;   in Loop: Header=BB96_9 Depth=1
	s_mov_b64 s[18:19], -1
	s_and_b64 vcc, exec, s[4:5]
	s_cbranch_vccz .LBB96_25
; %bb.20:                               ;   in Loop: Header=BB96_9 Depth=1
	s_and_b64 vcc, exec, s[8:9]
	s_cbranch_vccz .LBB96_22
; %bb.21:                               ;   in Loop: Header=BB96_9 Depth=1
	v_lshlrev_b64 v[4:5], 2, v[2:3]
	v_add_co_u32_e32 v4, vcc, v12, v4
	v_addc_co_u32_e32 v5, vcc, v13, v5, vcc
	global_load_dword v6, v[4:5], off
	v_mul_f32_e32 v7, s28, v17
	s_mov_b64 s[18:19], 0
	s_waitcnt vmcnt(0)
	v_fmac_f32_e32 v7, s30, v6
	global_store_dword v[4:5], v7, off
.LBB96_22:                              ;   in Loop: Header=BB96_9 Depth=1
	s_andn2_b64 vcc, exec, s[18:19]
	s_cbranch_vccnz .LBB96_24
; %bb.23:                               ;   in Loop: Header=BB96_9 Depth=1
	v_mul_lo_u32 v6, v3, s26
	v_mul_lo_u32 v7, v2, s27
	v_mad_u64_u32 v[4:5], s[18:19], v2, s26, 0
	v_add3_u32 v5, v5, v7, v6
	v_lshlrev_b64 v[4:5], 2, v[4:5]
	v_add_co_u32_e32 v4, vcc, v10, v4
	v_addc_co_u32_e32 v5, vcc, v11, v5, vcc
	global_load_dword v6, v[4:5], off
	v_mul_f32_e32 v7, s28, v17
	s_waitcnt vmcnt(0)
	v_fmac_f32_e32 v7, s30, v6
	global_store_dword v[4:5], v7, off
.LBB96_24:                              ;   in Loop: Header=BB96_9 Depth=1
	s_mov_b64 s[18:19], 0
.LBB96_25:                              ;   in Loop: Header=BB96_9 Depth=1
	s_andn2_b64 vcc, exec, s[18:19]
	s_cbranch_vccnz .LBB96_8
; %bb.26:                               ;   in Loop: Header=BB96_9 Depth=1
	v_mul_f32_e32 v4, s28, v17
	s_mov_b64 s[18:19], -1
	s_and_b64 vcc, exec, s[8:9]
	s_cbranch_vccz .LBB96_28
; %bb.27:                               ;   in Loop: Header=BB96_9 Depth=1
	v_lshlrev_b64 v[6:7], 2, v[2:3]
	v_add_co_u32_e32 v6, vcc, v12, v6
	v_addc_co_u32_e32 v7, vcc, v13, v7, vcc
	global_store_dword v[6:7], v4, off
	s_mov_b64 s[18:19], 0
.LBB96_28:                              ;   in Loop: Header=BB96_9 Depth=1
	s_andn2_b64 vcc, exec, s[18:19]
	s_cbranch_vccnz .LBB96_8
; %bb.29:                               ;   in Loop: Header=BB96_9 Depth=1
	v_mul_lo_u32 v5, v3, s26
	v_mul_lo_u32 v6, v2, s27
	v_mad_u64_u32 v[2:3], s[18:19], v2, s26, 0
	v_add3_u32 v3, v3, v6, v5
	v_lshlrev_b64 v[2:3], 2, v[2:3]
	v_add_co_u32_e32 v2, vcc, v10, v2
	v_addc_co_u32_e32 v3, vcc, v11, v3, vcc
	global_store_dword v[2:3], v4, off
	s_branch .LBB96_8
.LBB96_30:
	s_endpgm
	.section	.rodata,"a",@progbits
	.p2align	6, 0x0
	.amdhsa_kernel _ZN9rocsparseL29bsrmmnt_small_blockdim_kernelILj64ELj64ELj2EiiaaffEEv20rocsparse_direction_T3_S2_llNS_24const_host_device_scalarIT7_EEPKT2_PKS2_PKT4_PKT5_llS5_PT6_ll16rocsparse_order_21rocsparse_index_base_b
		.amdhsa_group_segment_fixed_size 448
		.amdhsa_private_segment_fixed_size 0
		.amdhsa_kernarg_size 392
		.amdhsa_user_sgpr_count 6
		.amdhsa_user_sgpr_private_segment_buffer 1
		.amdhsa_user_sgpr_dispatch_ptr 0
		.amdhsa_user_sgpr_queue_ptr 0
		.amdhsa_user_sgpr_kernarg_segment_ptr 1
		.amdhsa_user_sgpr_dispatch_id 0
		.amdhsa_user_sgpr_flat_scratch_init 0
		.amdhsa_user_sgpr_kernarg_preload_length 0
		.amdhsa_user_sgpr_kernarg_preload_offset 0
		.amdhsa_user_sgpr_private_segment_size 0
		.amdhsa_uses_dynamic_stack 0
		.amdhsa_system_sgpr_private_segment_wavefront_offset 0
		.amdhsa_system_sgpr_workgroup_id_x 1
		.amdhsa_system_sgpr_workgroup_id_y 0
		.amdhsa_system_sgpr_workgroup_id_z 0
		.amdhsa_system_sgpr_workgroup_info 0
		.amdhsa_system_vgpr_workitem_id 0
		.amdhsa_next_free_vgpr 30
		.amdhsa_next_free_sgpr 41
		.amdhsa_accum_offset 32
		.amdhsa_reserve_vcc 1
		.amdhsa_reserve_flat_scratch 0
		.amdhsa_float_round_mode_32 0
		.amdhsa_float_round_mode_16_64 0
		.amdhsa_float_denorm_mode_32 3
		.amdhsa_float_denorm_mode_16_64 3
		.amdhsa_dx10_clamp 1
		.amdhsa_ieee_mode 1
		.amdhsa_fp16_overflow 0
		.amdhsa_tg_split 0
		.amdhsa_exception_fp_ieee_invalid_op 0
		.amdhsa_exception_fp_denorm_src 0
		.amdhsa_exception_fp_ieee_div_zero 0
		.amdhsa_exception_fp_ieee_overflow 0
		.amdhsa_exception_fp_ieee_underflow 0
		.amdhsa_exception_fp_ieee_inexact 0
		.amdhsa_exception_int_div_zero 0
	.end_amdhsa_kernel
	.section	.text._ZN9rocsparseL29bsrmmnt_small_blockdim_kernelILj64ELj64ELj2EiiaaffEEv20rocsparse_direction_T3_S2_llNS_24const_host_device_scalarIT7_EEPKT2_PKS2_PKT4_PKT5_llS5_PT6_ll16rocsparse_order_21rocsparse_index_base_b,"axG",@progbits,_ZN9rocsparseL29bsrmmnt_small_blockdim_kernelILj64ELj64ELj2EiiaaffEEv20rocsparse_direction_T3_S2_llNS_24const_host_device_scalarIT7_EEPKT2_PKS2_PKT4_PKT5_llS5_PT6_ll16rocsparse_order_21rocsparse_index_base_b,comdat
.Lfunc_end96:
	.size	_ZN9rocsparseL29bsrmmnt_small_blockdim_kernelILj64ELj64ELj2EiiaaffEEv20rocsparse_direction_T3_S2_llNS_24const_host_device_scalarIT7_EEPKT2_PKS2_PKT4_PKT5_llS5_PT6_ll16rocsparse_order_21rocsparse_index_base_b, .Lfunc_end96-_ZN9rocsparseL29bsrmmnt_small_blockdim_kernelILj64ELj64ELj2EiiaaffEEv20rocsparse_direction_T3_S2_llNS_24const_host_device_scalarIT7_EEPKT2_PKS2_PKT4_PKT5_llS5_PT6_ll16rocsparse_order_21rocsparse_index_base_b
                                        ; -- End function
	.section	.AMDGPU.csdata,"",@progbits
; Kernel info:
; codeLenInByte = 1272
; NumSgprs: 45
; NumVgprs: 30
; NumAgprs: 0
; TotalNumVgprs: 30
; ScratchSize: 0
; MemoryBound: 0
; FloatMode: 240
; IeeeMode: 1
; LDSByteSize: 448 bytes/workgroup (compile time only)
; SGPRBlocks: 5
; VGPRBlocks: 3
; NumSGPRsForWavesPerEU: 45
; NumVGPRsForWavesPerEU: 30
; AccumOffset: 32
; Occupancy: 8
; WaveLimiterHint : 0
; COMPUTE_PGM_RSRC2:SCRATCH_EN: 0
; COMPUTE_PGM_RSRC2:USER_SGPR: 6
; COMPUTE_PGM_RSRC2:TRAP_HANDLER: 0
; COMPUTE_PGM_RSRC2:TGID_X_EN: 1
; COMPUTE_PGM_RSRC2:TGID_Y_EN: 0
; COMPUTE_PGM_RSRC2:TGID_Z_EN: 0
; COMPUTE_PGM_RSRC2:TIDIG_COMP_CNT: 0
; COMPUTE_PGM_RSRC3_GFX90A:ACCUM_OFFSET: 7
; COMPUTE_PGM_RSRC3_GFX90A:TG_SPLIT: 0
	.section	.text._ZN9rocsparseL29bsrmmnt_small_blockdim_kernelILj64ELj8ELj2EliaaffEEv20rocsparse_direction_T3_S2_llNS_24const_host_device_scalarIT7_EEPKT2_PKS2_PKT4_PKT5_llS5_PT6_ll16rocsparse_order_21rocsparse_index_base_b,"axG",@progbits,_ZN9rocsparseL29bsrmmnt_small_blockdim_kernelILj64ELj8ELj2EliaaffEEv20rocsparse_direction_T3_S2_llNS_24const_host_device_scalarIT7_EEPKT2_PKS2_PKT4_PKT5_llS5_PT6_ll16rocsparse_order_21rocsparse_index_base_b,comdat
	.globl	_ZN9rocsparseL29bsrmmnt_small_blockdim_kernelILj64ELj8ELj2EliaaffEEv20rocsparse_direction_T3_S2_llNS_24const_host_device_scalarIT7_EEPKT2_PKS2_PKT4_PKT5_llS5_PT6_ll16rocsparse_order_21rocsparse_index_base_b ; -- Begin function _ZN9rocsparseL29bsrmmnt_small_blockdim_kernelILj64ELj8ELj2EliaaffEEv20rocsparse_direction_T3_S2_llNS_24const_host_device_scalarIT7_EEPKT2_PKS2_PKT4_PKT5_llS5_PT6_ll16rocsparse_order_21rocsparse_index_base_b
	.p2align	8
	.type	_ZN9rocsparseL29bsrmmnt_small_blockdim_kernelILj64ELj8ELj2EliaaffEEv20rocsparse_direction_T3_S2_llNS_24const_host_device_scalarIT7_EEPKT2_PKS2_PKT4_PKT5_llS5_PT6_ll16rocsparse_order_21rocsparse_index_base_b,@function
_ZN9rocsparseL29bsrmmnt_small_blockdim_kernelILj64ELj8ELj2EliaaffEEv20rocsparse_direction_T3_S2_llNS_24const_host_device_scalarIT7_EEPKT2_PKS2_PKT4_PKT5_llS5_PT6_ll16rocsparse_order_21rocsparse_index_base_b: ; @_ZN9rocsparseL29bsrmmnt_small_blockdim_kernelILj64ELj8ELj2EliaaffEEv20rocsparse_direction_T3_S2_llNS_24const_host_device_scalarIT7_EEPKT2_PKS2_PKT4_PKT5_llS5_PT6_ll16rocsparse_order_21rocsparse_index_base_b
; %bb.0:
	s_load_dwordx4 s[16:19], s[4:5], 0x78
	s_load_dwordx2 s[28:29], s[4:5], 0x20
	s_load_dwordx2 s[30:31], s[4:5], 0x58
	s_waitcnt lgkmcnt(0)
	s_bitcmp1_b32 s18, 0
	s_cselect_b64 s[2:3], -1, 0
	s_xor_b64 s[0:1], s[2:3], -1
	s_and_b64 vcc, exec, s[2:3]
	s_cbranch_vccnz .LBB97_2
; %bb.1:
	s_load_dword s28, s[28:29], 0x0
.LBB97_2:
	s_andn2_b64 vcc, exec, s[0:1]
	s_cbranch_vccnz .LBB97_4
; %bb.3:
	s_load_dword s30, s[30:31], 0x0
.LBB97_4:
	s_waitcnt lgkmcnt(0)
	v_cmp_eq_f32_e64 s[0:1], s28, 0
	v_cmp_eq_f32_e64 s[2:3], s30, 1.0
	s_and_b64 s[0:1], s[0:1], s[2:3]
	s_and_b64 vcc, exec, s[0:1]
	s_cbranch_vccnz .LBB97_30
; %bb.5:
	s_load_dword s0, s[4:5], 0x94
	s_load_dwordx4 s[20:23], s[4:5], 0x0
	s_waitcnt lgkmcnt(0)
	s_and_b32 s0, s0, 0xffff
	s_mul_i32 s6, s6, s0
	v_add_u32_e32 v1, s6, v0
	v_lshrrev_b32_e32 v2, 4, v1
	v_cmp_gt_i32_e32 vcc, s21, v2
	s_and_saveexec_b64 s[0:1], vcc
	s_cbranch_execz .LBB97_30
; %bb.6:
	s_cmp_lt_i32 s22, 1
	s_cbranch_scc1 .LBB97_30
; %bb.7:
	s_load_dwordx8 s[8:15], s[4:5], 0x28
	v_lshlrev_b32_e32 v2, 3, v2
	s_cmp_lg_u32 s16, 1
	v_lshrrev_b32_e32 v5, 3, v1
	v_bfe_u32 v6, v1, 3, 1
	s_waitcnt lgkmcnt(0)
	global_load_dwordx4 v[8:11], v2, s[8:9]
	s_load_dwordx4 s[24:27], s[4:5], 0x60
	s_load_dwordx2 s[6:7], s[4:5], 0x48
	v_and_b32_e32 v2, 7, v0
	v_lshrrev_b32_e32 v0, 3, v0
	s_cselect_b64 s[8:9], -1, 0
	s_cmp_eq_u32 s20, 0
	v_lshlrev_b32_e32 v3, 5, v0
	v_mul_u32_u24_e32 v0, 24, v0
	s_cselect_b64 s[0:1], -1, 0
	v_or_b32_e32 v16, 0x100, v0
	v_cndmask_b32_e64 v13, 0, 1, s[0:1]
	s_and_b64 s[0:1], s[0:1], exec
	s_waitcnt lgkmcnt(0)
	v_mad_u64_u32 v[0:1], s[0:1], v5, s26, 0
	v_mov_b32_e32 v4, v1
	v_lshlrev_b32_e32 v12, 2, v5
	v_mad_u64_u32 v[4:5], s[0:1], v5, s27, v[4:5]
	v_mov_b32_e32 v14, s25
	v_add_co_u32_e32 v18, vcc, s24, v12
	v_mov_b32_e32 v1, v4
	v_addc_co_u32_e32 v19, vcc, 0, v14, vcc
	v_lshlrev_b64 v[0:1], 2, v[0:1]
	v_add_co_u32_e32 v20, vcc, s24, v0
	v_addc_co_u32_e32 v21, vcc, v14, v1, vcc
	s_mov_b32 s23, 0
	v_cmp_neq_f32_e64 s[4:5], s30, 0
	v_lshl_or_b32 v7, v2, 2, v3
	v_mad_u32_u24 v17, v2, 3, v16
	s_cselect_b32 s16, 1, 2
	v_lshlrev_b32_e32 v6, v13, v6
	s_waitcnt vmcnt(0)
	v_subrev_co_u32_e32 v0, vcc, s17, v8
	v_subbrev_co_u32_e32 v1, vcc, 0, v9, vcc
	v_subrev_co_u32_e32 v4, vcc, s17, v10
	v_subbrev_co_u32_e32 v5, vcc, 0, v11, vcc
	v_cmp_lt_i64_e64 s[0:1], v[8:9], v[10:11]
	s_branch .LBB97_9
.LBB97_8:                               ;   in Loop: Header=BB97_9 Depth=1
	s_or_b64 exec, exec, s[2:3]
	s_add_i32 s23, s23, 8
	s_cmp_lt_i32 s23, s22
	s_cbranch_scc0 .LBB97_30
.LBB97_9:                               ; =>This Loop Header: Depth=1
                                        ;     Child Loop BB97_12 Depth 2
                                        ;       Child Loop BB97_16 Depth 3
	v_or_b32_e32 v8, s23, v2
	v_ashrrev_i32_e32 v9, 31, v8
	v_mov_b32_e32 v22, 0
	s_and_saveexec_b64 s[18:19], s[0:1]
	s_cbranch_execz .LBB97_18
; %bb.10:                               ;   in Loop: Header=BB97_9 Depth=1
	v_mov_b32_e32 v11, s15
	v_add_co_u32_e64 v10, s[2:3], s14, v8
	v_cmp_gt_i32_e32 vcc, s22, v8
	v_addc_co_u32_e64 v11, s[2:3], v11, v9, s[2:3]
	s_mov_b64 s[20:21], 0
	v_mov_b32_e32 v22, 0
	v_pk_mov_b32 v[12:13], v[0:1], v[0:1] op_sel:[0,1]
	s_branch .LBB97_12
.LBB97_11:                              ;   in Loop: Header=BB97_12 Depth=2
	s_or_b64 exec, exec, s[2:3]
	v_add_co_u32_e64 v12, s[2:3], 8, v12
	v_addc_co_u32_e64 v13, s[2:3], 0, v13, s[2:3]
	v_cmp_ge_i64_e64 s[2:3], v[12:13], v[4:5]
	s_or_b64 s[20:21], s[2:3], s[20:21]
	s_andn2_b64 exec, exec, s[20:21]
	s_cbranch_execz .LBB97_17
.LBB97_12:                              ;   Parent Loop BB97_9 Depth=1
                                        ; =>  This Loop Header: Depth=2
                                        ;       Child Loop BB97_16 Depth 3
	v_add_co_u32_e64 v14, s[2:3], v12, v2
	v_addc_co_u32_e64 v15, s[2:3], 0, v13, s[2:3]
	v_cmp_lt_i64_e64 s[2:3], v[14:15], v[4:5]
	v_mov_b32_e32 v24, 0
	v_mov_b32_e32 v23, 0
	;; [unrolled: 1-line block ×3, first 2 shown]
	s_and_saveexec_b64 s[24:25], s[2:3]
	s_cbranch_execz .LBB97_14
; %bb.13:                               ;   in Loop: Header=BB97_12 Depth=2
	v_lshlrev_b64 v[14:15], 2, v[14:15]
	v_mov_b32_e32 v23, s11
	v_add_co_u32_e64 v24, s[2:3], s10, v14
	v_addc_co_u32_e64 v25, s[2:3], v23, v15, s[2:3]
	global_load_dword v24, v[24:25], off
	v_or_b32_e32 v25, v14, v6
	v_or_b32_e32 v23, 0, v15
	;; [unrolled: 1-line block ×3, first 2 shown]
	v_mov_b32_e32 v26, s13
	v_or_b32_e32 v15, 0, v23
	v_add_co_u32_e64 v14, s[2:3], s12, v14
	v_addc_co_u32_e64 v15, s[2:3], v26, v15, s[2:3]
	global_load_sbyte v27, v[14:15], off
	v_add_co_u32_e64 v14, s[2:3], s12, v25
	v_addc_co_u32_e64 v15, s[2:3], v26, v23, s[2:3]
	global_load_ubyte v23, v[14:15], off
	s_waitcnt vmcnt(2)
	v_subrev_u32_e32 v14, s17, v24
	v_lshlrev_b32_e32 v24, 1, v14
	s_waitcnt vmcnt(1)
	v_cvt_f32_i32_e32 v25, v27
.LBB97_14:                              ;   in Loop: Header=BB97_12 Depth=2
	s_or_b64 exec, exec, s[24:25]
	v_cvt_i32_f32_e32 v14, v25
	ds_write_b32 v7, v24
	s_waitcnt vmcnt(0)
	ds_write_b8 v17, v23
	ds_write_b8 v17, v14 offset:1
	s_waitcnt lgkmcnt(0)
	; wave barrier
	s_waitcnt lgkmcnt(0)
	s_and_saveexec_b64 s[2:3], vcc
	s_cbranch_execz .LBB97_11
; %bb.15:                               ;   in Loop: Header=BB97_12 Depth=2
	s_mov_b32 s24, 0
	v_mov_b32_e32 v14, v16
.LBB97_16:                              ;   Parent Loop BB97_9 Depth=1
                                        ;     Parent Loop BB97_12 Depth=2
                                        ; =>    This Inner Loop Header: Depth=3
	v_add_u32_e32 v15, s24, v3
	ds_read_b64 v[24:25], v15
	s_add_i32 s24, s24, 8
	s_cmp_lg_u32 s24, 32
	s_waitcnt lgkmcnt(0)
	v_ashrrev_i32_e32 v15, 31, v24
	v_mul_lo_u32 v23, v24, s7
	v_mad_u64_u32 v[26:27], s[34:35], v24, s6, v[10:11]
	v_add_u32_e32 v24, 1, v24
	v_add_u32_e32 v31, 1, v25
	v_ashrrev_i32_e32 v30, 31, v25
	v_mul_lo_u32 v15, v15, s6
	v_ashrrev_i32_e32 v33, 31, v24
	v_ashrrev_i32_e32 v36, 31, v31
	v_mul_lo_u32 v32, v25, s7
	v_mad_u64_u32 v[28:29], s[34:35], v25, s6, v[10:11]
	v_mul_lo_u32 v34, v24, s7
	v_mad_u64_u32 v[24:25], s[34:35], v24, s6, v[10:11]
	v_mul_lo_u32 v35, v30, s6
	v_mul_lo_u32 v37, v31, s7
	v_mad_u64_u32 v[30:31], s[34:35], v31, s6, v[10:11]
	v_add3_u32 v27, v15, v27, v23
	v_mul_lo_u32 v15, v33, s6
	v_mul_lo_u32 v23, v36, s6
	v_add3_u32 v29, v35, v29, v32
	v_add3_u32 v25, v15, v25, v34
	;; [unrolled: 1-line block ×3, first 2 shown]
	global_load_sbyte v15, v[26:27], off
	global_load_sbyte v23, v[24:25], off
	;; [unrolled: 1-line block ×4, first 2 shown]
	ds_read_u16 v24, v14
	ds_read_i8 v25, v14 offset:3
	ds_read_i8 v26, v14 offset:4
	v_add_u32_e32 v14, 6, v14
	s_waitcnt lgkmcnt(2)
	v_bfe_i32 v27, v24, 0, 8
	v_ashrrev_i16_e32 v24, 8, v24
	v_cvt_f32_i32_sdwa v27, sext(v27) dst_sel:DWORD dst_unused:UNUSED_PAD src0_sel:WORD_0
	v_cvt_f32_i32_sdwa v24, sext(v24) dst_sel:DWORD dst_unused:UNUSED_PAD src0_sel:WORD_0
	s_waitcnt lgkmcnt(1)
	v_cvt_f32_i32_e32 v25, v25
	s_waitcnt lgkmcnt(0)
	v_cvt_f32_i32_e32 v26, v26
	s_waitcnt vmcnt(3)
	v_cvt_f32_i32_e32 v15, v15
	s_waitcnt vmcnt(2)
	;; [unrolled: 2-line block ×4, first 2 shown]
	v_cvt_f32_i32_e32 v29, v33
	v_fmac_f32_e32 v22, v27, v15
	v_fmac_f32_e32 v22, v24, v23
	;; [unrolled: 1-line block ×4, first 2 shown]
	s_cbranch_scc1 .LBB97_16
	s_branch .LBB97_11
.LBB97_17:                              ;   in Loop: Header=BB97_9 Depth=1
	s_or_b64 exec, exec, s[20:21]
.LBB97_18:                              ;   in Loop: Header=BB97_9 Depth=1
	s_or_b64 exec, exec, s[18:19]
	v_cmp_gt_i32_e32 vcc, s22, v8
	s_and_saveexec_b64 s[2:3], vcc
	s_cbranch_execz .LBB97_8
; %bb.19:                               ;   in Loop: Header=BB97_9 Depth=1
	s_mov_b64 s[18:19], -1
	s_and_b64 vcc, exec, s[4:5]
	s_cbranch_vccz .LBB97_25
; %bb.20:                               ;   in Loop: Header=BB97_9 Depth=1
	s_and_b64 vcc, exec, s[8:9]
	s_cbranch_vccz .LBB97_22
; %bb.21:                               ;   in Loop: Header=BB97_9 Depth=1
	v_lshlrev_b64 v[10:11], 2, v[8:9]
	v_add_co_u32_e32 v10, vcc, v20, v10
	v_addc_co_u32_e32 v11, vcc, v21, v11, vcc
	global_load_dword v12, v[10:11], off
	v_mul_f32_e32 v13, s28, v22
	s_mov_b64 s[18:19], 0
	s_waitcnt vmcnt(0)
	v_fmac_f32_e32 v13, s30, v12
	global_store_dword v[10:11], v13, off
.LBB97_22:                              ;   in Loop: Header=BB97_9 Depth=1
	s_andn2_b64 vcc, exec, s[18:19]
	s_cbranch_vccnz .LBB97_24
; %bb.23:                               ;   in Loop: Header=BB97_9 Depth=1
	v_mul_lo_u32 v12, v9, s26
	v_mul_lo_u32 v13, v8, s27
	v_mad_u64_u32 v[10:11], s[18:19], v8, s26, 0
	v_add3_u32 v11, v11, v13, v12
	v_lshlrev_b64 v[10:11], 2, v[10:11]
	v_add_co_u32_e32 v10, vcc, v18, v10
	v_addc_co_u32_e32 v11, vcc, v19, v11, vcc
	global_load_dword v12, v[10:11], off
	v_mul_f32_e32 v13, s28, v22
	s_waitcnt vmcnt(0)
	v_fmac_f32_e32 v13, s30, v12
	global_store_dword v[10:11], v13, off
.LBB97_24:                              ;   in Loop: Header=BB97_9 Depth=1
	s_mov_b64 s[18:19], 0
.LBB97_25:                              ;   in Loop: Header=BB97_9 Depth=1
	s_andn2_b64 vcc, exec, s[18:19]
	s_cbranch_vccnz .LBB97_8
; %bb.26:                               ;   in Loop: Header=BB97_9 Depth=1
	v_mul_f32_e32 v10, s28, v22
	s_mov_b64 s[18:19], -1
	s_and_b64 vcc, exec, s[8:9]
	s_cbranch_vccz .LBB97_28
; %bb.27:                               ;   in Loop: Header=BB97_9 Depth=1
	v_lshlrev_b64 v[12:13], 2, v[8:9]
	v_add_co_u32_e32 v12, vcc, v20, v12
	v_addc_co_u32_e32 v13, vcc, v21, v13, vcc
	global_store_dword v[12:13], v10, off
	s_mov_b64 s[18:19], 0
.LBB97_28:                              ;   in Loop: Header=BB97_9 Depth=1
	s_andn2_b64 vcc, exec, s[18:19]
	s_cbranch_vccnz .LBB97_8
; %bb.29:                               ;   in Loop: Header=BB97_9 Depth=1
	v_mul_lo_u32 v11, v9, s26
	v_mul_lo_u32 v12, v8, s27
	v_mad_u64_u32 v[8:9], s[18:19], v8, s26, 0
	v_add3_u32 v9, v9, v12, v11
	v_lshlrev_b64 v[8:9], 2, v[8:9]
	v_add_co_u32_e32 v8, vcc, v18, v8
	v_addc_co_u32_e32 v9, vcc, v19, v9, vcc
	global_store_dword v[8:9], v10, off
	s_branch .LBB97_8
.LBB97_30:
	s_endpgm
	.section	.rodata,"a",@progbits
	.p2align	6, 0x0
	.amdhsa_kernel _ZN9rocsparseL29bsrmmnt_small_blockdim_kernelILj64ELj8ELj2EliaaffEEv20rocsparse_direction_T3_S2_llNS_24const_host_device_scalarIT7_EEPKT2_PKS2_PKT4_PKT5_llS5_PT6_ll16rocsparse_order_21rocsparse_index_base_b
		.amdhsa_group_segment_fixed_size 448
		.amdhsa_private_segment_fixed_size 0
		.amdhsa_kernarg_size 392
		.amdhsa_user_sgpr_count 6
		.amdhsa_user_sgpr_private_segment_buffer 1
		.amdhsa_user_sgpr_dispatch_ptr 0
		.amdhsa_user_sgpr_queue_ptr 0
		.amdhsa_user_sgpr_kernarg_segment_ptr 1
		.amdhsa_user_sgpr_dispatch_id 0
		.amdhsa_user_sgpr_flat_scratch_init 0
		.amdhsa_user_sgpr_kernarg_preload_length 0
		.amdhsa_user_sgpr_kernarg_preload_offset 0
		.amdhsa_user_sgpr_private_segment_size 0
		.amdhsa_uses_dynamic_stack 0
		.amdhsa_system_sgpr_private_segment_wavefront_offset 0
		.amdhsa_system_sgpr_workgroup_id_x 1
		.amdhsa_system_sgpr_workgroup_id_y 0
		.amdhsa_system_sgpr_workgroup_id_z 0
		.amdhsa_system_sgpr_workgroup_info 0
		.amdhsa_system_vgpr_workitem_id 0
		.amdhsa_next_free_vgpr 38
		.amdhsa_next_free_sgpr 36
		.amdhsa_accum_offset 40
		.amdhsa_reserve_vcc 1
		.amdhsa_reserve_flat_scratch 0
		.amdhsa_float_round_mode_32 0
		.amdhsa_float_round_mode_16_64 0
		.amdhsa_float_denorm_mode_32 3
		.amdhsa_float_denorm_mode_16_64 3
		.amdhsa_dx10_clamp 1
		.amdhsa_ieee_mode 1
		.amdhsa_fp16_overflow 0
		.amdhsa_tg_split 0
		.amdhsa_exception_fp_ieee_invalid_op 0
		.amdhsa_exception_fp_denorm_src 0
		.amdhsa_exception_fp_ieee_div_zero 0
		.amdhsa_exception_fp_ieee_overflow 0
		.amdhsa_exception_fp_ieee_underflow 0
		.amdhsa_exception_fp_ieee_inexact 0
		.amdhsa_exception_int_div_zero 0
	.end_amdhsa_kernel
	.section	.text._ZN9rocsparseL29bsrmmnt_small_blockdim_kernelILj64ELj8ELj2EliaaffEEv20rocsparse_direction_T3_S2_llNS_24const_host_device_scalarIT7_EEPKT2_PKS2_PKT4_PKT5_llS5_PT6_ll16rocsparse_order_21rocsparse_index_base_b,"axG",@progbits,_ZN9rocsparseL29bsrmmnt_small_blockdim_kernelILj64ELj8ELj2EliaaffEEv20rocsparse_direction_T3_S2_llNS_24const_host_device_scalarIT7_EEPKT2_PKS2_PKT4_PKT5_llS5_PT6_ll16rocsparse_order_21rocsparse_index_base_b,comdat
.Lfunc_end97:
	.size	_ZN9rocsparseL29bsrmmnt_small_blockdim_kernelILj64ELj8ELj2EliaaffEEv20rocsparse_direction_T3_S2_llNS_24const_host_device_scalarIT7_EEPKT2_PKS2_PKT4_PKT5_llS5_PT6_ll16rocsparse_order_21rocsparse_index_base_b, .Lfunc_end97-_ZN9rocsparseL29bsrmmnt_small_blockdim_kernelILj64ELj8ELj2EliaaffEEv20rocsparse_direction_T3_S2_llNS_24const_host_device_scalarIT7_EEPKT2_PKS2_PKT4_PKT5_llS5_PT6_ll16rocsparse_order_21rocsparse_index_base_b
                                        ; -- End function
	.section	.AMDGPU.csdata,"",@progbits
; Kernel info:
; codeLenInByte = 1384
; NumSgprs: 40
; NumVgprs: 38
; NumAgprs: 0
; TotalNumVgprs: 38
; ScratchSize: 0
; MemoryBound: 0
; FloatMode: 240
; IeeeMode: 1
; LDSByteSize: 448 bytes/workgroup (compile time only)
; SGPRBlocks: 4
; VGPRBlocks: 4
; NumSGPRsForWavesPerEU: 40
; NumVGPRsForWavesPerEU: 38
; AccumOffset: 40
; Occupancy: 8
; WaveLimiterHint : 0
; COMPUTE_PGM_RSRC2:SCRATCH_EN: 0
; COMPUTE_PGM_RSRC2:USER_SGPR: 6
; COMPUTE_PGM_RSRC2:TRAP_HANDLER: 0
; COMPUTE_PGM_RSRC2:TGID_X_EN: 1
; COMPUTE_PGM_RSRC2:TGID_Y_EN: 0
; COMPUTE_PGM_RSRC2:TGID_Z_EN: 0
; COMPUTE_PGM_RSRC2:TIDIG_COMP_CNT: 0
; COMPUTE_PGM_RSRC3_GFX90A:ACCUM_OFFSET: 9
; COMPUTE_PGM_RSRC3_GFX90A:TG_SPLIT: 0
	.section	.text._ZN9rocsparseL29bsrmmnt_small_blockdim_kernelILj64ELj16ELj2EliaaffEEv20rocsparse_direction_T3_S2_llNS_24const_host_device_scalarIT7_EEPKT2_PKS2_PKT4_PKT5_llS5_PT6_ll16rocsparse_order_21rocsparse_index_base_b,"axG",@progbits,_ZN9rocsparseL29bsrmmnt_small_blockdim_kernelILj64ELj16ELj2EliaaffEEv20rocsparse_direction_T3_S2_llNS_24const_host_device_scalarIT7_EEPKT2_PKS2_PKT4_PKT5_llS5_PT6_ll16rocsparse_order_21rocsparse_index_base_b,comdat
	.globl	_ZN9rocsparseL29bsrmmnt_small_blockdim_kernelILj64ELj16ELj2EliaaffEEv20rocsparse_direction_T3_S2_llNS_24const_host_device_scalarIT7_EEPKT2_PKS2_PKT4_PKT5_llS5_PT6_ll16rocsparse_order_21rocsparse_index_base_b ; -- Begin function _ZN9rocsparseL29bsrmmnt_small_blockdim_kernelILj64ELj16ELj2EliaaffEEv20rocsparse_direction_T3_S2_llNS_24const_host_device_scalarIT7_EEPKT2_PKS2_PKT4_PKT5_llS5_PT6_ll16rocsparse_order_21rocsparse_index_base_b
	.p2align	8
	.type	_ZN9rocsparseL29bsrmmnt_small_blockdim_kernelILj64ELj16ELj2EliaaffEEv20rocsparse_direction_T3_S2_llNS_24const_host_device_scalarIT7_EEPKT2_PKS2_PKT4_PKT5_llS5_PT6_ll16rocsparse_order_21rocsparse_index_base_b,@function
_ZN9rocsparseL29bsrmmnt_small_blockdim_kernelILj64ELj16ELj2EliaaffEEv20rocsparse_direction_T3_S2_llNS_24const_host_device_scalarIT7_EEPKT2_PKS2_PKT4_PKT5_llS5_PT6_ll16rocsparse_order_21rocsparse_index_base_b: ; @_ZN9rocsparseL29bsrmmnt_small_blockdim_kernelILj64ELj16ELj2EliaaffEEv20rocsparse_direction_T3_S2_llNS_24const_host_device_scalarIT7_EEPKT2_PKS2_PKT4_PKT5_llS5_PT6_ll16rocsparse_order_21rocsparse_index_base_b
; %bb.0:
	s_load_dwordx4 s[16:19], s[4:5], 0x78
	s_load_dwordx2 s[28:29], s[4:5], 0x20
	s_load_dwordx2 s[30:31], s[4:5], 0x58
	s_waitcnt lgkmcnt(0)
	s_bitcmp1_b32 s18, 0
	s_cselect_b64 s[2:3], -1, 0
	s_xor_b64 s[0:1], s[2:3], -1
	s_and_b64 vcc, exec, s[2:3]
	s_cbranch_vccnz .LBB98_2
; %bb.1:
	s_load_dword s28, s[28:29], 0x0
.LBB98_2:
	s_andn2_b64 vcc, exec, s[0:1]
	s_cbranch_vccnz .LBB98_4
; %bb.3:
	s_load_dword s30, s[30:31], 0x0
.LBB98_4:
	s_waitcnt lgkmcnt(0)
	v_cmp_eq_f32_e64 s[0:1], s28, 0
	v_cmp_eq_f32_e64 s[2:3], s30, 1.0
	s_and_b64 s[0:1], s[0:1], s[2:3]
	s_and_b64 vcc, exec, s[0:1]
	s_cbranch_vccnz .LBB98_30
; %bb.5:
	s_load_dword s0, s[4:5], 0x94
	s_load_dwordx4 s[20:23], s[4:5], 0x0
	s_waitcnt lgkmcnt(0)
	s_and_b32 s0, s0, 0xffff
	s_mul_i32 s6, s6, s0
	v_add_u32_e32 v1, s6, v0
	v_lshrrev_b32_e32 v2, 5, v1
	v_cmp_gt_i32_e32 vcc, s21, v2
	s_and_saveexec_b64 s[0:1], vcc
	s_cbranch_execz .LBB98_30
; %bb.6:
	s_cmp_lt_i32 s22, 1
	s_cbranch_scc1 .LBB98_30
; %bb.7:
	s_load_dwordx8 s[8:15], s[4:5], 0x28
	v_lshlrev_b32_e32 v2, 3, v2
	s_cmp_lg_u32 s16, 1
	v_lshrrev_b32_e32 v5, 4, v1
	v_bfe_u32 v6, v1, 4, 1
	s_waitcnt lgkmcnt(0)
	global_load_dwordx4 v[8:11], v2, s[8:9]
	s_load_dwordx4 s[24:27], s[4:5], 0x60
	s_load_dwordx2 s[6:7], s[4:5], 0x48
	v_and_b32_e32 v2, 15, v0
	v_lshrrev_b32_e32 v0, 4, v0
	s_cselect_b64 s[8:9], -1, 0
	s_cmp_eq_u32 s20, 0
	v_lshlrev_b32_e32 v3, 6, v0
	v_mul_u32_u24_e32 v0, 48, v0
	s_cselect_b64 s[0:1], -1, 0
	v_or_b32_e32 v16, 0x100, v0
	v_cndmask_b32_e64 v13, 0, 1, s[0:1]
	s_and_b64 s[0:1], s[0:1], exec
	s_waitcnt lgkmcnt(0)
	v_mad_u64_u32 v[0:1], s[0:1], v5, s26, 0
	v_mov_b32_e32 v4, v1
	v_lshlrev_b32_e32 v12, 2, v5
	v_mad_u64_u32 v[4:5], s[0:1], v5, s27, v[4:5]
	v_mov_b32_e32 v14, s25
	v_add_co_u32_e32 v18, vcc, s24, v12
	v_mov_b32_e32 v1, v4
	v_addc_co_u32_e32 v19, vcc, 0, v14, vcc
	v_lshlrev_b64 v[0:1], 2, v[0:1]
	v_add_co_u32_e32 v20, vcc, s24, v0
	v_addc_co_u32_e32 v21, vcc, v14, v1, vcc
	s_mov_b32 s23, 0
	v_cmp_neq_f32_e64 s[4:5], s30, 0
	v_lshl_or_b32 v7, v2, 2, v3
	v_mad_u32_u24 v17, v2, 3, v16
	s_cselect_b32 s16, 1, 2
	v_lshlrev_b32_e32 v6, v13, v6
	s_waitcnt vmcnt(0)
	v_subrev_co_u32_e32 v0, vcc, s17, v8
	v_subbrev_co_u32_e32 v1, vcc, 0, v9, vcc
	v_subrev_co_u32_e32 v4, vcc, s17, v10
	v_subbrev_co_u32_e32 v5, vcc, 0, v11, vcc
	v_cmp_lt_i64_e64 s[0:1], v[8:9], v[10:11]
	s_branch .LBB98_9
.LBB98_8:                               ;   in Loop: Header=BB98_9 Depth=1
	s_or_b64 exec, exec, s[2:3]
	s_add_i32 s23, s23, 16
	s_cmp_lt_i32 s23, s22
	s_cbranch_scc0 .LBB98_30
.LBB98_9:                               ; =>This Loop Header: Depth=1
                                        ;     Child Loop BB98_12 Depth 2
                                        ;       Child Loop BB98_16 Depth 3
	v_or_b32_e32 v8, s23, v2
	v_ashrrev_i32_e32 v9, 31, v8
	v_mov_b32_e32 v22, 0
	s_and_saveexec_b64 s[18:19], s[0:1]
	s_cbranch_execz .LBB98_18
; %bb.10:                               ;   in Loop: Header=BB98_9 Depth=1
	v_mov_b32_e32 v11, s15
	v_add_co_u32_e64 v10, s[2:3], s14, v8
	v_cmp_gt_i32_e32 vcc, s22, v8
	v_addc_co_u32_e64 v11, s[2:3], v11, v9, s[2:3]
	s_mov_b64 s[20:21], 0
	v_mov_b32_e32 v22, 0
	v_pk_mov_b32 v[12:13], v[0:1], v[0:1] op_sel:[0,1]
	s_branch .LBB98_12
.LBB98_11:                              ;   in Loop: Header=BB98_12 Depth=2
	s_or_b64 exec, exec, s[2:3]
	v_add_co_u32_e64 v12, s[2:3], 16, v12
	v_addc_co_u32_e64 v13, s[2:3], 0, v13, s[2:3]
	v_cmp_ge_i64_e64 s[2:3], v[12:13], v[4:5]
	s_or_b64 s[20:21], s[2:3], s[20:21]
	s_andn2_b64 exec, exec, s[20:21]
	s_cbranch_execz .LBB98_17
.LBB98_12:                              ;   Parent Loop BB98_9 Depth=1
                                        ; =>  This Loop Header: Depth=2
                                        ;       Child Loop BB98_16 Depth 3
	v_add_co_u32_e64 v14, s[2:3], v12, v2
	v_addc_co_u32_e64 v15, s[2:3], 0, v13, s[2:3]
	v_cmp_lt_i64_e64 s[2:3], v[14:15], v[4:5]
	v_mov_b32_e32 v24, 0
	v_mov_b32_e32 v23, 0
	;; [unrolled: 1-line block ×3, first 2 shown]
	s_and_saveexec_b64 s[24:25], s[2:3]
	s_cbranch_execz .LBB98_14
; %bb.13:                               ;   in Loop: Header=BB98_12 Depth=2
	v_lshlrev_b64 v[14:15], 2, v[14:15]
	v_mov_b32_e32 v23, s11
	v_add_co_u32_e64 v24, s[2:3], s10, v14
	v_addc_co_u32_e64 v25, s[2:3], v23, v15, s[2:3]
	global_load_dword v24, v[24:25], off
	v_or_b32_e32 v25, v14, v6
	v_or_b32_e32 v23, 0, v15
	v_or_b32_e32 v14, s16, v25
	v_mov_b32_e32 v26, s13
	v_or_b32_e32 v15, 0, v23
	v_add_co_u32_e64 v14, s[2:3], s12, v14
	v_addc_co_u32_e64 v15, s[2:3], v26, v15, s[2:3]
	global_load_sbyte v27, v[14:15], off
	v_add_co_u32_e64 v14, s[2:3], s12, v25
	v_addc_co_u32_e64 v15, s[2:3], v26, v23, s[2:3]
	global_load_ubyte v23, v[14:15], off
	s_waitcnt vmcnt(2)
	v_subrev_u32_e32 v14, s17, v24
	v_lshlrev_b32_e32 v24, 1, v14
	s_waitcnt vmcnt(1)
	v_cvt_f32_i32_e32 v25, v27
.LBB98_14:                              ;   in Loop: Header=BB98_12 Depth=2
	s_or_b64 exec, exec, s[24:25]
	v_cvt_i32_f32_e32 v14, v25
	ds_write_b32 v7, v24
	s_waitcnt vmcnt(0)
	ds_write_b8 v17, v23
	ds_write_b8 v17, v14 offset:1
	s_waitcnt lgkmcnt(0)
	; wave barrier
	s_waitcnt lgkmcnt(0)
	s_and_saveexec_b64 s[2:3], vcc
	s_cbranch_execz .LBB98_11
; %bb.15:                               ;   in Loop: Header=BB98_12 Depth=2
	s_mov_b32 s24, 0
	v_mov_b32_e32 v14, v16
.LBB98_16:                              ;   Parent Loop BB98_9 Depth=1
                                        ;     Parent Loop BB98_12 Depth=2
                                        ; =>    This Inner Loop Header: Depth=3
	v_add_u32_e32 v15, s24, v3
	ds_read_b64 v[24:25], v15
	s_add_i32 s24, s24, 8
	s_cmp_lg_u32 s24, 64
	s_waitcnt lgkmcnt(0)
	v_ashrrev_i32_e32 v15, 31, v24
	v_mul_lo_u32 v23, v24, s7
	v_mad_u64_u32 v[26:27], s[34:35], v24, s6, v[10:11]
	v_add_u32_e32 v24, 1, v24
	v_add_u32_e32 v31, 1, v25
	v_ashrrev_i32_e32 v30, 31, v25
	v_mul_lo_u32 v15, v15, s6
	v_ashrrev_i32_e32 v33, 31, v24
	v_ashrrev_i32_e32 v36, 31, v31
	v_mul_lo_u32 v32, v25, s7
	v_mad_u64_u32 v[28:29], s[34:35], v25, s6, v[10:11]
	v_mul_lo_u32 v34, v24, s7
	v_mad_u64_u32 v[24:25], s[34:35], v24, s6, v[10:11]
	v_mul_lo_u32 v35, v30, s6
	v_mul_lo_u32 v37, v31, s7
	v_mad_u64_u32 v[30:31], s[34:35], v31, s6, v[10:11]
	v_add3_u32 v27, v15, v27, v23
	v_mul_lo_u32 v15, v33, s6
	v_mul_lo_u32 v23, v36, s6
	v_add3_u32 v29, v35, v29, v32
	v_add3_u32 v25, v15, v25, v34
	v_add3_u32 v31, v23, v31, v37
	global_load_sbyte v15, v[26:27], off
	global_load_sbyte v23, v[24:25], off
	;; [unrolled: 1-line block ×4, first 2 shown]
	ds_read_u16 v24, v14
	ds_read_i8 v25, v14 offset:3
	ds_read_i8 v26, v14 offset:4
	v_add_u32_e32 v14, 6, v14
	s_waitcnt lgkmcnt(2)
	v_bfe_i32 v27, v24, 0, 8
	v_ashrrev_i16_e32 v24, 8, v24
	v_cvt_f32_i32_sdwa v27, sext(v27) dst_sel:DWORD dst_unused:UNUSED_PAD src0_sel:WORD_0
	v_cvt_f32_i32_sdwa v24, sext(v24) dst_sel:DWORD dst_unused:UNUSED_PAD src0_sel:WORD_0
	s_waitcnt lgkmcnt(1)
	v_cvt_f32_i32_e32 v25, v25
	s_waitcnt lgkmcnt(0)
	v_cvt_f32_i32_e32 v26, v26
	s_waitcnt vmcnt(3)
	v_cvt_f32_i32_e32 v15, v15
	s_waitcnt vmcnt(2)
	;; [unrolled: 2-line block ×4, first 2 shown]
	v_cvt_f32_i32_e32 v29, v33
	v_fmac_f32_e32 v22, v27, v15
	v_fmac_f32_e32 v22, v24, v23
	;; [unrolled: 1-line block ×4, first 2 shown]
	s_cbranch_scc1 .LBB98_16
	s_branch .LBB98_11
.LBB98_17:                              ;   in Loop: Header=BB98_9 Depth=1
	s_or_b64 exec, exec, s[20:21]
.LBB98_18:                              ;   in Loop: Header=BB98_9 Depth=1
	s_or_b64 exec, exec, s[18:19]
	v_cmp_gt_i32_e32 vcc, s22, v8
	s_and_saveexec_b64 s[2:3], vcc
	s_cbranch_execz .LBB98_8
; %bb.19:                               ;   in Loop: Header=BB98_9 Depth=1
	s_mov_b64 s[18:19], -1
	s_and_b64 vcc, exec, s[4:5]
	s_cbranch_vccz .LBB98_25
; %bb.20:                               ;   in Loop: Header=BB98_9 Depth=1
	s_and_b64 vcc, exec, s[8:9]
	s_cbranch_vccz .LBB98_22
; %bb.21:                               ;   in Loop: Header=BB98_9 Depth=1
	v_lshlrev_b64 v[10:11], 2, v[8:9]
	v_add_co_u32_e32 v10, vcc, v20, v10
	v_addc_co_u32_e32 v11, vcc, v21, v11, vcc
	global_load_dword v12, v[10:11], off
	v_mul_f32_e32 v13, s28, v22
	s_mov_b64 s[18:19], 0
	s_waitcnt vmcnt(0)
	v_fmac_f32_e32 v13, s30, v12
	global_store_dword v[10:11], v13, off
.LBB98_22:                              ;   in Loop: Header=BB98_9 Depth=1
	s_andn2_b64 vcc, exec, s[18:19]
	s_cbranch_vccnz .LBB98_24
; %bb.23:                               ;   in Loop: Header=BB98_9 Depth=1
	v_mul_lo_u32 v12, v9, s26
	v_mul_lo_u32 v13, v8, s27
	v_mad_u64_u32 v[10:11], s[18:19], v8, s26, 0
	v_add3_u32 v11, v11, v13, v12
	v_lshlrev_b64 v[10:11], 2, v[10:11]
	v_add_co_u32_e32 v10, vcc, v18, v10
	v_addc_co_u32_e32 v11, vcc, v19, v11, vcc
	global_load_dword v12, v[10:11], off
	v_mul_f32_e32 v13, s28, v22
	s_waitcnt vmcnt(0)
	v_fmac_f32_e32 v13, s30, v12
	global_store_dword v[10:11], v13, off
.LBB98_24:                              ;   in Loop: Header=BB98_9 Depth=1
	s_mov_b64 s[18:19], 0
.LBB98_25:                              ;   in Loop: Header=BB98_9 Depth=1
	s_andn2_b64 vcc, exec, s[18:19]
	s_cbranch_vccnz .LBB98_8
; %bb.26:                               ;   in Loop: Header=BB98_9 Depth=1
	v_mul_f32_e32 v10, s28, v22
	s_mov_b64 s[18:19], -1
	s_and_b64 vcc, exec, s[8:9]
	s_cbranch_vccz .LBB98_28
; %bb.27:                               ;   in Loop: Header=BB98_9 Depth=1
	v_lshlrev_b64 v[12:13], 2, v[8:9]
	v_add_co_u32_e32 v12, vcc, v20, v12
	v_addc_co_u32_e32 v13, vcc, v21, v13, vcc
	global_store_dword v[12:13], v10, off
	s_mov_b64 s[18:19], 0
.LBB98_28:                              ;   in Loop: Header=BB98_9 Depth=1
	s_andn2_b64 vcc, exec, s[18:19]
	s_cbranch_vccnz .LBB98_8
; %bb.29:                               ;   in Loop: Header=BB98_9 Depth=1
	v_mul_lo_u32 v11, v9, s26
	v_mul_lo_u32 v12, v8, s27
	v_mad_u64_u32 v[8:9], s[18:19], v8, s26, 0
	v_add3_u32 v9, v9, v12, v11
	v_lshlrev_b64 v[8:9], 2, v[8:9]
	v_add_co_u32_e32 v8, vcc, v18, v8
	v_addc_co_u32_e32 v9, vcc, v19, v9, vcc
	global_store_dword v[8:9], v10, off
	s_branch .LBB98_8
.LBB98_30:
	s_endpgm
	.section	.rodata,"a",@progbits
	.p2align	6, 0x0
	.amdhsa_kernel _ZN9rocsparseL29bsrmmnt_small_blockdim_kernelILj64ELj16ELj2EliaaffEEv20rocsparse_direction_T3_S2_llNS_24const_host_device_scalarIT7_EEPKT2_PKS2_PKT4_PKT5_llS5_PT6_ll16rocsparse_order_21rocsparse_index_base_b
		.amdhsa_group_segment_fixed_size 448
		.amdhsa_private_segment_fixed_size 0
		.amdhsa_kernarg_size 392
		.amdhsa_user_sgpr_count 6
		.amdhsa_user_sgpr_private_segment_buffer 1
		.amdhsa_user_sgpr_dispatch_ptr 0
		.amdhsa_user_sgpr_queue_ptr 0
		.amdhsa_user_sgpr_kernarg_segment_ptr 1
		.amdhsa_user_sgpr_dispatch_id 0
		.amdhsa_user_sgpr_flat_scratch_init 0
		.amdhsa_user_sgpr_kernarg_preload_length 0
		.amdhsa_user_sgpr_kernarg_preload_offset 0
		.amdhsa_user_sgpr_private_segment_size 0
		.amdhsa_uses_dynamic_stack 0
		.amdhsa_system_sgpr_private_segment_wavefront_offset 0
		.amdhsa_system_sgpr_workgroup_id_x 1
		.amdhsa_system_sgpr_workgroup_id_y 0
		.amdhsa_system_sgpr_workgroup_id_z 0
		.amdhsa_system_sgpr_workgroup_info 0
		.amdhsa_system_vgpr_workitem_id 0
		.amdhsa_next_free_vgpr 38
		.amdhsa_next_free_sgpr 36
		.amdhsa_accum_offset 40
		.amdhsa_reserve_vcc 1
		.amdhsa_reserve_flat_scratch 0
		.amdhsa_float_round_mode_32 0
		.amdhsa_float_round_mode_16_64 0
		.amdhsa_float_denorm_mode_32 3
		.amdhsa_float_denorm_mode_16_64 3
		.amdhsa_dx10_clamp 1
		.amdhsa_ieee_mode 1
		.amdhsa_fp16_overflow 0
		.amdhsa_tg_split 0
		.amdhsa_exception_fp_ieee_invalid_op 0
		.amdhsa_exception_fp_denorm_src 0
		.amdhsa_exception_fp_ieee_div_zero 0
		.amdhsa_exception_fp_ieee_overflow 0
		.amdhsa_exception_fp_ieee_underflow 0
		.amdhsa_exception_fp_ieee_inexact 0
		.amdhsa_exception_int_div_zero 0
	.end_amdhsa_kernel
	.section	.text._ZN9rocsparseL29bsrmmnt_small_blockdim_kernelILj64ELj16ELj2EliaaffEEv20rocsparse_direction_T3_S2_llNS_24const_host_device_scalarIT7_EEPKT2_PKS2_PKT4_PKT5_llS5_PT6_ll16rocsparse_order_21rocsparse_index_base_b,"axG",@progbits,_ZN9rocsparseL29bsrmmnt_small_blockdim_kernelILj64ELj16ELj2EliaaffEEv20rocsparse_direction_T3_S2_llNS_24const_host_device_scalarIT7_EEPKT2_PKS2_PKT4_PKT5_llS5_PT6_ll16rocsparse_order_21rocsparse_index_base_b,comdat
.Lfunc_end98:
	.size	_ZN9rocsparseL29bsrmmnt_small_blockdim_kernelILj64ELj16ELj2EliaaffEEv20rocsparse_direction_T3_S2_llNS_24const_host_device_scalarIT7_EEPKT2_PKS2_PKT4_PKT5_llS5_PT6_ll16rocsparse_order_21rocsparse_index_base_b, .Lfunc_end98-_ZN9rocsparseL29bsrmmnt_small_blockdim_kernelILj64ELj16ELj2EliaaffEEv20rocsparse_direction_T3_S2_llNS_24const_host_device_scalarIT7_EEPKT2_PKS2_PKT4_PKT5_llS5_PT6_ll16rocsparse_order_21rocsparse_index_base_b
                                        ; -- End function
	.section	.AMDGPU.csdata,"",@progbits
; Kernel info:
; codeLenInByte = 1384
; NumSgprs: 40
; NumVgprs: 38
; NumAgprs: 0
; TotalNumVgprs: 38
; ScratchSize: 0
; MemoryBound: 0
; FloatMode: 240
; IeeeMode: 1
; LDSByteSize: 448 bytes/workgroup (compile time only)
; SGPRBlocks: 4
; VGPRBlocks: 4
; NumSGPRsForWavesPerEU: 40
; NumVGPRsForWavesPerEU: 38
; AccumOffset: 40
; Occupancy: 8
; WaveLimiterHint : 0
; COMPUTE_PGM_RSRC2:SCRATCH_EN: 0
; COMPUTE_PGM_RSRC2:USER_SGPR: 6
; COMPUTE_PGM_RSRC2:TRAP_HANDLER: 0
; COMPUTE_PGM_RSRC2:TGID_X_EN: 1
; COMPUTE_PGM_RSRC2:TGID_Y_EN: 0
; COMPUTE_PGM_RSRC2:TGID_Z_EN: 0
; COMPUTE_PGM_RSRC2:TIDIG_COMP_CNT: 0
; COMPUTE_PGM_RSRC3_GFX90A:ACCUM_OFFSET: 9
; COMPUTE_PGM_RSRC3_GFX90A:TG_SPLIT: 0
	.section	.text._ZN9rocsparseL29bsrmmnt_small_blockdim_kernelILj64ELj32ELj2EliaaffEEv20rocsparse_direction_T3_S2_llNS_24const_host_device_scalarIT7_EEPKT2_PKS2_PKT4_PKT5_llS5_PT6_ll16rocsparse_order_21rocsparse_index_base_b,"axG",@progbits,_ZN9rocsparseL29bsrmmnt_small_blockdim_kernelILj64ELj32ELj2EliaaffEEv20rocsparse_direction_T3_S2_llNS_24const_host_device_scalarIT7_EEPKT2_PKS2_PKT4_PKT5_llS5_PT6_ll16rocsparse_order_21rocsparse_index_base_b,comdat
	.globl	_ZN9rocsparseL29bsrmmnt_small_blockdim_kernelILj64ELj32ELj2EliaaffEEv20rocsparse_direction_T3_S2_llNS_24const_host_device_scalarIT7_EEPKT2_PKS2_PKT4_PKT5_llS5_PT6_ll16rocsparse_order_21rocsparse_index_base_b ; -- Begin function _ZN9rocsparseL29bsrmmnt_small_blockdim_kernelILj64ELj32ELj2EliaaffEEv20rocsparse_direction_T3_S2_llNS_24const_host_device_scalarIT7_EEPKT2_PKS2_PKT4_PKT5_llS5_PT6_ll16rocsparse_order_21rocsparse_index_base_b
	.p2align	8
	.type	_ZN9rocsparseL29bsrmmnt_small_blockdim_kernelILj64ELj32ELj2EliaaffEEv20rocsparse_direction_T3_S2_llNS_24const_host_device_scalarIT7_EEPKT2_PKS2_PKT4_PKT5_llS5_PT6_ll16rocsparse_order_21rocsparse_index_base_b,@function
_ZN9rocsparseL29bsrmmnt_small_blockdim_kernelILj64ELj32ELj2EliaaffEEv20rocsparse_direction_T3_S2_llNS_24const_host_device_scalarIT7_EEPKT2_PKS2_PKT4_PKT5_llS5_PT6_ll16rocsparse_order_21rocsparse_index_base_b: ; @_ZN9rocsparseL29bsrmmnt_small_blockdim_kernelILj64ELj32ELj2EliaaffEEv20rocsparse_direction_T3_S2_llNS_24const_host_device_scalarIT7_EEPKT2_PKS2_PKT4_PKT5_llS5_PT6_ll16rocsparse_order_21rocsparse_index_base_b
; %bb.0:
	s_load_dwordx4 s[16:19], s[4:5], 0x78
	s_load_dwordx2 s[28:29], s[4:5], 0x20
	s_load_dwordx2 s[30:31], s[4:5], 0x58
	s_waitcnt lgkmcnt(0)
	s_bitcmp1_b32 s18, 0
	s_cselect_b64 s[2:3], -1, 0
	s_xor_b64 s[0:1], s[2:3], -1
	s_and_b64 vcc, exec, s[2:3]
	s_cbranch_vccnz .LBB99_2
; %bb.1:
	s_load_dword s28, s[28:29], 0x0
.LBB99_2:
	s_andn2_b64 vcc, exec, s[0:1]
	s_cbranch_vccnz .LBB99_4
; %bb.3:
	s_load_dword s30, s[30:31], 0x0
.LBB99_4:
	s_waitcnt lgkmcnt(0)
	v_cmp_eq_f32_e64 s[0:1], s28, 0
	v_cmp_eq_f32_e64 s[2:3], s30, 1.0
	s_and_b64 s[0:1], s[0:1], s[2:3]
	s_and_b64 vcc, exec, s[0:1]
	s_cbranch_vccnz .LBB99_30
; %bb.5:
	s_load_dword s0, s[4:5], 0x94
	s_load_dwordx4 s[20:23], s[4:5], 0x0
	s_waitcnt lgkmcnt(0)
	s_and_b32 s0, s0, 0xffff
	s_mul_i32 s6, s6, s0
	v_add_u32_e32 v1, s6, v0
	v_lshrrev_b32_e32 v2, 6, v1
	v_cmp_gt_i32_e32 vcc, s21, v2
	s_and_saveexec_b64 s[0:1], vcc
	s_cbranch_execz .LBB99_30
; %bb.6:
	s_cmp_lt_i32 s22, 1
	s_cbranch_scc1 .LBB99_30
; %bb.7:
	s_load_dwordx8 s[8:15], s[4:5], 0x28
	v_lshlrev_b32_e32 v2, 3, v2
	s_cmp_lg_u32 s16, 1
	v_lshrrev_b32_e32 v5, 5, v1
	v_bfe_u32 v6, v1, 5, 1
	s_waitcnt lgkmcnt(0)
	global_load_dwordx4 v[8:11], v2, s[8:9]
	s_load_dwordx4 s[24:27], s[4:5], 0x60
	s_load_dwordx2 s[6:7], s[4:5], 0x48
	v_and_b32_e32 v2, 31, v0
	v_lshrrev_b32_e32 v0, 5, v0
	s_cselect_b64 s[8:9], -1, 0
	s_cmp_eq_u32 s20, 0
	v_lshlrev_b32_e32 v3, 7, v0
	v_mul_u32_u24_e32 v0, 0x60, v0
	s_cselect_b64 s[0:1], -1, 0
	v_or_b32_e32 v16, 0x100, v0
	v_cndmask_b32_e64 v13, 0, 1, s[0:1]
	s_and_b64 s[0:1], s[0:1], exec
	s_waitcnt lgkmcnt(0)
	v_mad_u64_u32 v[0:1], s[0:1], v5, s26, 0
	v_mov_b32_e32 v4, v1
	v_lshlrev_b32_e32 v12, 2, v5
	v_mad_u64_u32 v[4:5], s[0:1], v5, s27, v[4:5]
	v_mov_b32_e32 v14, s25
	v_add_co_u32_e32 v18, vcc, s24, v12
	v_mov_b32_e32 v1, v4
	v_addc_co_u32_e32 v19, vcc, 0, v14, vcc
	v_lshlrev_b64 v[0:1], 2, v[0:1]
	v_add_co_u32_e32 v20, vcc, s24, v0
	v_addc_co_u32_e32 v21, vcc, v14, v1, vcc
	s_mov_b32 s23, 0
	v_cmp_neq_f32_e64 s[4:5], s30, 0
	v_lshl_or_b32 v7, v2, 2, v3
	v_mad_u32_u24 v17, v2, 3, v16
	s_cselect_b32 s16, 1, 2
	v_lshlrev_b32_e32 v6, v13, v6
	s_waitcnt vmcnt(0)
	v_subrev_co_u32_e32 v0, vcc, s17, v8
	v_subbrev_co_u32_e32 v1, vcc, 0, v9, vcc
	v_subrev_co_u32_e32 v4, vcc, s17, v10
	v_subbrev_co_u32_e32 v5, vcc, 0, v11, vcc
	v_cmp_lt_i64_e64 s[0:1], v[8:9], v[10:11]
	s_branch .LBB99_9
.LBB99_8:                               ;   in Loop: Header=BB99_9 Depth=1
	s_or_b64 exec, exec, s[2:3]
	s_add_i32 s23, s23, 32
	s_cmp_lt_i32 s23, s22
	s_cbranch_scc0 .LBB99_30
.LBB99_9:                               ; =>This Loop Header: Depth=1
                                        ;     Child Loop BB99_12 Depth 2
                                        ;       Child Loop BB99_16 Depth 3
	v_or_b32_e32 v8, s23, v2
	v_ashrrev_i32_e32 v9, 31, v8
	v_mov_b32_e32 v22, 0
	s_and_saveexec_b64 s[18:19], s[0:1]
	s_cbranch_execz .LBB99_18
; %bb.10:                               ;   in Loop: Header=BB99_9 Depth=1
	v_mov_b32_e32 v11, s15
	v_add_co_u32_e64 v10, s[2:3], s14, v8
	v_cmp_gt_i32_e32 vcc, s22, v8
	v_addc_co_u32_e64 v11, s[2:3], v11, v9, s[2:3]
	s_mov_b64 s[20:21], 0
	v_mov_b32_e32 v22, 0
	v_pk_mov_b32 v[12:13], v[0:1], v[0:1] op_sel:[0,1]
	s_branch .LBB99_12
.LBB99_11:                              ;   in Loop: Header=BB99_12 Depth=2
	s_or_b64 exec, exec, s[2:3]
	v_add_co_u32_e64 v12, s[2:3], 32, v12
	v_addc_co_u32_e64 v13, s[2:3], 0, v13, s[2:3]
	v_cmp_ge_i64_e64 s[2:3], v[12:13], v[4:5]
	s_or_b64 s[20:21], s[2:3], s[20:21]
	s_andn2_b64 exec, exec, s[20:21]
	s_cbranch_execz .LBB99_17
.LBB99_12:                              ;   Parent Loop BB99_9 Depth=1
                                        ; =>  This Loop Header: Depth=2
                                        ;       Child Loop BB99_16 Depth 3
	v_add_co_u32_e64 v14, s[2:3], v12, v2
	v_addc_co_u32_e64 v15, s[2:3], 0, v13, s[2:3]
	v_cmp_lt_i64_e64 s[2:3], v[14:15], v[4:5]
	v_mov_b32_e32 v24, 0
	v_mov_b32_e32 v23, 0
	;; [unrolled: 1-line block ×3, first 2 shown]
	s_and_saveexec_b64 s[24:25], s[2:3]
	s_cbranch_execz .LBB99_14
; %bb.13:                               ;   in Loop: Header=BB99_12 Depth=2
	v_lshlrev_b64 v[14:15], 2, v[14:15]
	v_mov_b32_e32 v23, s11
	v_add_co_u32_e64 v24, s[2:3], s10, v14
	v_addc_co_u32_e64 v25, s[2:3], v23, v15, s[2:3]
	global_load_dword v24, v[24:25], off
	v_or_b32_e32 v25, v14, v6
	v_or_b32_e32 v23, 0, v15
	;; [unrolled: 1-line block ×3, first 2 shown]
	v_mov_b32_e32 v26, s13
	v_or_b32_e32 v15, 0, v23
	v_add_co_u32_e64 v14, s[2:3], s12, v14
	v_addc_co_u32_e64 v15, s[2:3], v26, v15, s[2:3]
	global_load_sbyte v27, v[14:15], off
	v_add_co_u32_e64 v14, s[2:3], s12, v25
	v_addc_co_u32_e64 v15, s[2:3], v26, v23, s[2:3]
	global_load_ubyte v23, v[14:15], off
	s_waitcnt vmcnt(2)
	v_subrev_u32_e32 v14, s17, v24
	v_lshlrev_b32_e32 v24, 1, v14
	s_waitcnt vmcnt(1)
	v_cvt_f32_i32_e32 v25, v27
.LBB99_14:                              ;   in Loop: Header=BB99_12 Depth=2
	s_or_b64 exec, exec, s[24:25]
	v_cvt_i32_f32_e32 v14, v25
	ds_write_b32 v7, v24
	s_waitcnt vmcnt(0)
	ds_write_b8 v17, v23
	ds_write_b8 v17, v14 offset:1
	s_waitcnt lgkmcnt(0)
	; wave barrier
	s_waitcnt lgkmcnt(0)
	s_and_saveexec_b64 s[2:3], vcc
	s_cbranch_execz .LBB99_11
; %bb.15:                               ;   in Loop: Header=BB99_12 Depth=2
	s_mov_b32 s24, 0
	v_mov_b32_e32 v14, v16
.LBB99_16:                              ;   Parent Loop BB99_9 Depth=1
                                        ;     Parent Loop BB99_12 Depth=2
                                        ; =>    This Inner Loop Header: Depth=3
	v_add_u32_e32 v15, s24, v3
	ds_read_b64 v[24:25], v15
	s_add_i32 s24, s24, 8
	s_cmpk_lg_i32 s24, 0x80
	s_waitcnt lgkmcnt(0)
	v_ashrrev_i32_e32 v15, 31, v24
	v_mul_lo_u32 v23, v24, s7
	v_mad_u64_u32 v[26:27], s[34:35], v24, s6, v[10:11]
	v_add_u32_e32 v24, 1, v24
	v_add_u32_e32 v31, 1, v25
	v_ashrrev_i32_e32 v30, 31, v25
	v_mul_lo_u32 v15, v15, s6
	v_ashrrev_i32_e32 v33, 31, v24
	v_ashrrev_i32_e32 v36, 31, v31
	v_mul_lo_u32 v32, v25, s7
	v_mad_u64_u32 v[28:29], s[34:35], v25, s6, v[10:11]
	v_mul_lo_u32 v34, v24, s7
	v_mad_u64_u32 v[24:25], s[34:35], v24, s6, v[10:11]
	v_mul_lo_u32 v35, v30, s6
	v_mul_lo_u32 v37, v31, s7
	v_mad_u64_u32 v[30:31], s[34:35], v31, s6, v[10:11]
	v_add3_u32 v27, v15, v27, v23
	v_mul_lo_u32 v15, v33, s6
	v_mul_lo_u32 v23, v36, s6
	v_add3_u32 v29, v35, v29, v32
	v_add3_u32 v25, v15, v25, v34
	;; [unrolled: 1-line block ×3, first 2 shown]
	global_load_sbyte v15, v[26:27], off
	global_load_sbyte v23, v[24:25], off
	;; [unrolled: 1-line block ×4, first 2 shown]
	ds_read_u16 v24, v14
	ds_read_i8 v25, v14 offset:3
	ds_read_i8 v26, v14 offset:4
	v_add_u32_e32 v14, 6, v14
	s_waitcnt lgkmcnt(2)
	v_bfe_i32 v27, v24, 0, 8
	v_ashrrev_i16_e32 v24, 8, v24
	v_cvt_f32_i32_sdwa v27, sext(v27) dst_sel:DWORD dst_unused:UNUSED_PAD src0_sel:WORD_0
	v_cvt_f32_i32_sdwa v24, sext(v24) dst_sel:DWORD dst_unused:UNUSED_PAD src0_sel:WORD_0
	s_waitcnt lgkmcnt(1)
	v_cvt_f32_i32_e32 v25, v25
	s_waitcnt lgkmcnt(0)
	v_cvt_f32_i32_e32 v26, v26
	s_waitcnt vmcnt(3)
	v_cvt_f32_i32_e32 v15, v15
	s_waitcnt vmcnt(2)
	;; [unrolled: 2-line block ×4, first 2 shown]
	v_cvt_f32_i32_e32 v29, v33
	v_fmac_f32_e32 v22, v27, v15
	v_fmac_f32_e32 v22, v24, v23
	;; [unrolled: 1-line block ×4, first 2 shown]
	s_cbranch_scc1 .LBB99_16
	s_branch .LBB99_11
.LBB99_17:                              ;   in Loop: Header=BB99_9 Depth=1
	s_or_b64 exec, exec, s[20:21]
.LBB99_18:                              ;   in Loop: Header=BB99_9 Depth=1
	s_or_b64 exec, exec, s[18:19]
	v_cmp_gt_i32_e32 vcc, s22, v8
	s_and_saveexec_b64 s[2:3], vcc
	s_cbranch_execz .LBB99_8
; %bb.19:                               ;   in Loop: Header=BB99_9 Depth=1
	s_mov_b64 s[18:19], -1
	s_and_b64 vcc, exec, s[4:5]
	s_cbranch_vccz .LBB99_25
; %bb.20:                               ;   in Loop: Header=BB99_9 Depth=1
	s_and_b64 vcc, exec, s[8:9]
	s_cbranch_vccz .LBB99_22
; %bb.21:                               ;   in Loop: Header=BB99_9 Depth=1
	v_lshlrev_b64 v[10:11], 2, v[8:9]
	v_add_co_u32_e32 v10, vcc, v20, v10
	v_addc_co_u32_e32 v11, vcc, v21, v11, vcc
	global_load_dword v12, v[10:11], off
	v_mul_f32_e32 v13, s28, v22
	s_mov_b64 s[18:19], 0
	s_waitcnt vmcnt(0)
	v_fmac_f32_e32 v13, s30, v12
	global_store_dword v[10:11], v13, off
.LBB99_22:                              ;   in Loop: Header=BB99_9 Depth=1
	s_andn2_b64 vcc, exec, s[18:19]
	s_cbranch_vccnz .LBB99_24
; %bb.23:                               ;   in Loop: Header=BB99_9 Depth=1
	v_mul_lo_u32 v12, v9, s26
	v_mul_lo_u32 v13, v8, s27
	v_mad_u64_u32 v[10:11], s[18:19], v8, s26, 0
	v_add3_u32 v11, v11, v13, v12
	v_lshlrev_b64 v[10:11], 2, v[10:11]
	v_add_co_u32_e32 v10, vcc, v18, v10
	v_addc_co_u32_e32 v11, vcc, v19, v11, vcc
	global_load_dword v12, v[10:11], off
	v_mul_f32_e32 v13, s28, v22
	s_waitcnt vmcnt(0)
	v_fmac_f32_e32 v13, s30, v12
	global_store_dword v[10:11], v13, off
.LBB99_24:                              ;   in Loop: Header=BB99_9 Depth=1
	s_mov_b64 s[18:19], 0
.LBB99_25:                              ;   in Loop: Header=BB99_9 Depth=1
	s_andn2_b64 vcc, exec, s[18:19]
	s_cbranch_vccnz .LBB99_8
; %bb.26:                               ;   in Loop: Header=BB99_9 Depth=1
	v_mul_f32_e32 v10, s28, v22
	s_mov_b64 s[18:19], -1
	s_and_b64 vcc, exec, s[8:9]
	s_cbranch_vccz .LBB99_28
; %bb.27:                               ;   in Loop: Header=BB99_9 Depth=1
	v_lshlrev_b64 v[12:13], 2, v[8:9]
	v_add_co_u32_e32 v12, vcc, v20, v12
	v_addc_co_u32_e32 v13, vcc, v21, v13, vcc
	global_store_dword v[12:13], v10, off
	s_mov_b64 s[18:19], 0
.LBB99_28:                              ;   in Loop: Header=BB99_9 Depth=1
	s_andn2_b64 vcc, exec, s[18:19]
	s_cbranch_vccnz .LBB99_8
; %bb.29:                               ;   in Loop: Header=BB99_9 Depth=1
	v_mul_lo_u32 v11, v9, s26
	v_mul_lo_u32 v12, v8, s27
	v_mad_u64_u32 v[8:9], s[18:19], v8, s26, 0
	v_add3_u32 v9, v9, v12, v11
	v_lshlrev_b64 v[8:9], 2, v[8:9]
	v_add_co_u32_e32 v8, vcc, v18, v8
	v_addc_co_u32_e32 v9, vcc, v19, v9, vcc
	global_store_dword v[8:9], v10, off
	s_branch .LBB99_8
.LBB99_30:
	s_endpgm
	.section	.rodata,"a",@progbits
	.p2align	6, 0x0
	.amdhsa_kernel _ZN9rocsparseL29bsrmmnt_small_blockdim_kernelILj64ELj32ELj2EliaaffEEv20rocsparse_direction_T3_S2_llNS_24const_host_device_scalarIT7_EEPKT2_PKS2_PKT4_PKT5_llS5_PT6_ll16rocsparse_order_21rocsparse_index_base_b
		.amdhsa_group_segment_fixed_size 448
		.amdhsa_private_segment_fixed_size 0
		.amdhsa_kernarg_size 392
		.amdhsa_user_sgpr_count 6
		.amdhsa_user_sgpr_private_segment_buffer 1
		.amdhsa_user_sgpr_dispatch_ptr 0
		.amdhsa_user_sgpr_queue_ptr 0
		.amdhsa_user_sgpr_kernarg_segment_ptr 1
		.amdhsa_user_sgpr_dispatch_id 0
		.amdhsa_user_sgpr_flat_scratch_init 0
		.amdhsa_user_sgpr_kernarg_preload_length 0
		.amdhsa_user_sgpr_kernarg_preload_offset 0
		.amdhsa_user_sgpr_private_segment_size 0
		.amdhsa_uses_dynamic_stack 0
		.amdhsa_system_sgpr_private_segment_wavefront_offset 0
		.amdhsa_system_sgpr_workgroup_id_x 1
		.amdhsa_system_sgpr_workgroup_id_y 0
		.amdhsa_system_sgpr_workgroup_id_z 0
		.amdhsa_system_sgpr_workgroup_info 0
		.amdhsa_system_vgpr_workitem_id 0
		.amdhsa_next_free_vgpr 38
		.amdhsa_next_free_sgpr 36
		.amdhsa_accum_offset 40
		.amdhsa_reserve_vcc 1
		.amdhsa_reserve_flat_scratch 0
		.amdhsa_float_round_mode_32 0
		.amdhsa_float_round_mode_16_64 0
		.amdhsa_float_denorm_mode_32 3
		.amdhsa_float_denorm_mode_16_64 3
		.amdhsa_dx10_clamp 1
		.amdhsa_ieee_mode 1
		.amdhsa_fp16_overflow 0
		.amdhsa_tg_split 0
		.amdhsa_exception_fp_ieee_invalid_op 0
		.amdhsa_exception_fp_denorm_src 0
		.amdhsa_exception_fp_ieee_div_zero 0
		.amdhsa_exception_fp_ieee_overflow 0
		.amdhsa_exception_fp_ieee_underflow 0
		.amdhsa_exception_fp_ieee_inexact 0
		.amdhsa_exception_int_div_zero 0
	.end_amdhsa_kernel
	.section	.text._ZN9rocsparseL29bsrmmnt_small_blockdim_kernelILj64ELj32ELj2EliaaffEEv20rocsparse_direction_T3_S2_llNS_24const_host_device_scalarIT7_EEPKT2_PKS2_PKT4_PKT5_llS5_PT6_ll16rocsparse_order_21rocsparse_index_base_b,"axG",@progbits,_ZN9rocsparseL29bsrmmnt_small_blockdim_kernelILj64ELj32ELj2EliaaffEEv20rocsparse_direction_T3_S2_llNS_24const_host_device_scalarIT7_EEPKT2_PKS2_PKT4_PKT5_llS5_PT6_ll16rocsparse_order_21rocsparse_index_base_b,comdat
.Lfunc_end99:
	.size	_ZN9rocsparseL29bsrmmnt_small_blockdim_kernelILj64ELj32ELj2EliaaffEEv20rocsparse_direction_T3_S2_llNS_24const_host_device_scalarIT7_EEPKT2_PKS2_PKT4_PKT5_llS5_PT6_ll16rocsparse_order_21rocsparse_index_base_b, .Lfunc_end99-_ZN9rocsparseL29bsrmmnt_small_blockdim_kernelILj64ELj32ELj2EliaaffEEv20rocsparse_direction_T3_S2_llNS_24const_host_device_scalarIT7_EEPKT2_PKS2_PKT4_PKT5_llS5_PT6_ll16rocsparse_order_21rocsparse_index_base_b
                                        ; -- End function
	.section	.AMDGPU.csdata,"",@progbits
; Kernel info:
; codeLenInByte = 1388
; NumSgprs: 40
; NumVgprs: 38
; NumAgprs: 0
; TotalNumVgprs: 38
; ScratchSize: 0
; MemoryBound: 0
; FloatMode: 240
; IeeeMode: 1
; LDSByteSize: 448 bytes/workgroup (compile time only)
; SGPRBlocks: 4
; VGPRBlocks: 4
; NumSGPRsForWavesPerEU: 40
; NumVGPRsForWavesPerEU: 38
; AccumOffset: 40
; Occupancy: 8
; WaveLimiterHint : 0
; COMPUTE_PGM_RSRC2:SCRATCH_EN: 0
; COMPUTE_PGM_RSRC2:USER_SGPR: 6
; COMPUTE_PGM_RSRC2:TRAP_HANDLER: 0
; COMPUTE_PGM_RSRC2:TGID_X_EN: 1
; COMPUTE_PGM_RSRC2:TGID_Y_EN: 0
; COMPUTE_PGM_RSRC2:TGID_Z_EN: 0
; COMPUTE_PGM_RSRC2:TIDIG_COMP_CNT: 0
; COMPUTE_PGM_RSRC3_GFX90A:ACCUM_OFFSET: 9
; COMPUTE_PGM_RSRC3_GFX90A:TG_SPLIT: 0
	.section	.text._ZN9rocsparseL29bsrmmnt_small_blockdim_kernelILj64ELj64ELj2EliaaffEEv20rocsparse_direction_T3_S2_llNS_24const_host_device_scalarIT7_EEPKT2_PKS2_PKT4_PKT5_llS5_PT6_ll16rocsparse_order_21rocsparse_index_base_b,"axG",@progbits,_ZN9rocsparseL29bsrmmnt_small_blockdim_kernelILj64ELj64ELj2EliaaffEEv20rocsparse_direction_T3_S2_llNS_24const_host_device_scalarIT7_EEPKT2_PKS2_PKT4_PKT5_llS5_PT6_ll16rocsparse_order_21rocsparse_index_base_b,comdat
	.globl	_ZN9rocsparseL29bsrmmnt_small_blockdim_kernelILj64ELj64ELj2EliaaffEEv20rocsparse_direction_T3_S2_llNS_24const_host_device_scalarIT7_EEPKT2_PKS2_PKT4_PKT5_llS5_PT6_ll16rocsparse_order_21rocsparse_index_base_b ; -- Begin function _ZN9rocsparseL29bsrmmnt_small_blockdim_kernelILj64ELj64ELj2EliaaffEEv20rocsparse_direction_T3_S2_llNS_24const_host_device_scalarIT7_EEPKT2_PKS2_PKT4_PKT5_llS5_PT6_ll16rocsparse_order_21rocsparse_index_base_b
	.p2align	8
	.type	_ZN9rocsparseL29bsrmmnt_small_blockdim_kernelILj64ELj64ELj2EliaaffEEv20rocsparse_direction_T3_S2_llNS_24const_host_device_scalarIT7_EEPKT2_PKS2_PKT4_PKT5_llS5_PT6_ll16rocsparse_order_21rocsparse_index_base_b,@function
_ZN9rocsparseL29bsrmmnt_small_blockdim_kernelILj64ELj64ELj2EliaaffEEv20rocsparse_direction_T3_S2_llNS_24const_host_device_scalarIT7_EEPKT2_PKS2_PKT4_PKT5_llS5_PT6_ll16rocsparse_order_21rocsparse_index_base_b: ; @_ZN9rocsparseL29bsrmmnt_small_blockdim_kernelILj64ELj64ELj2EliaaffEEv20rocsparse_direction_T3_S2_llNS_24const_host_device_scalarIT7_EEPKT2_PKS2_PKT4_PKT5_llS5_PT6_ll16rocsparse_order_21rocsparse_index_base_b
; %bb.0:
	s_load_dwordx4 s[16:19], s[4:5], 0x78
	s_load_dwordx2 s[28:29], s[4:5], 0x20
	s_load_dwordx2 s[30:31], s[4:5], 0x58
	s_waitcnt lgkmcnt(0)
	s_bitcmp1_b32 s18, 0
	s_cselect_b64 s[2:3], -1, 0
	s_xor_b64 s[0:1], s[2:3], -1
	s_and_b64 vcc, exec, s[2:3]
	s_cbranch_vccnz .LBB100_2
; %bb.1:
	s_load_dword s28, s[28:29], 0x0
.LBB100_2:
	s_andn2_b64 vcc, exec, s[0:1]
	s_cbranch_vccnz .LBB100_4
; %bb.3:
	s_load_dword s30, s[30:31], 0x0
.LBB100_4:
	s_waitcnt lgkmcnt(0)
	v_cmp_eq_f32_e64 s[0:1], s28, 0
	v_cmp_eq_f32_e64 s[2:3], s30, 1.0
	s_and_b64 s[0:1], s[0:1], s[2:3]
	s_and_b64 vcc, exec, s[0:1]
	s_cbranch_vccnz .LBB100_30
; %bb.5:
	s_load_dword s0, s[4:5], 0x94
	s_load_dwordx4 s[20:23], s[4:5], 0x0
	s_waitcnt lgkmcnt(0)
	s_and_b32 s0, s0, 0xffff
	s_mul_i32 s6, s6, s0
	v_add_u32_e32 v1, s6, v0
	v_lshrrev_b32_e32 v2, 7, v1
	v_cmp_gt_i32_e32 vcc, s21, v2
	s_and_saveexec_b64 s[0:1], vcc
	s_cbranch_execz .LBB100_30
; %bb.6:
	s_cmp_lt_i32 s22, 1
	s_cbranch_scc1 .LBB100_30
; %bb.7:
	s_load_dwordx8 s[8:15], s[4:5], 0x28
	v_lshlrev_b32_e32 v2, 3, v2
	s_cmp_lg_u32 s16, 1
	v_lshrrev_b32_e32 v7, 6, v1
	v_lshlrev_b32_e32 v12, 2, v7
	s_waitcnt lgkmcnt(0)
	global_load_dwordx4 v[8:11], v2, s[8:9]
	s_load_dwordx4 s[24:27], s[4:5], 0x60
	s_load_dwordx2 s[6:7], s[4:5], 0x48
	s_cselect_b64 s[8:9], -1, 0
	s_cmp_eq_u32 s20, 0
	s_cselect_b64 s[0:1], -1, 0
	v_bfe_u32 v2, v1, 6, 1
	v_cndmask_b32_e64 v4, 0, 1, s[0:1]
	s_and_b64 s[0:1], s[0:1], exec
	v_lshlrev_b32_e32 v2, v4, v2
	s_waitcnt lgkmcnt(0)
	v_mad_u64_u32 v[4:5], s[0:1], v7, s26, 0
	v_mov_b32_e32 v6, v5
	v_mad_u64_u32 v[6:7], s[0:1], v7, s27, v[6:7]
	v_mov_b32_e32 v13, s25
	v_add_co_u32_e32 v16, vcc, s24, v12
	v_mov_b32_e32 v5, v6
	v_addc_co_u32_e32 v17, vcc, 0, v13, vcc
	v_lshlrev_b64 v[4:5], 2, v[4:5]
	v_add_co_u32_e32 v18, vcc, s24, v4
	v_addc_co_u32_e32 v19, vcc, v13, v5, vcc
	v_mul_u32_u24_e32 v3, 3, v0
	s_mov_b32 s23, 0
	v_lshlrev_b32_e32 v1, 2, v0
	v_cmp_neq_f32_e64 s[4:5], s30, 0
	v_or_b32_e32 v3, 0x100, v3
	s_cselect_b32 s16, 1, 2
	v_mov_b32_e32 v20, s6
	s_waitcnt vmcnt(0)
	v_subrev_co_u32_e32 v4, vcc, s17, v8
	v_subbrev_co_u32_e32 v5, vcc, 0, v9, vcc
	v_subrev_co_u32_e32 v6, vcc, s17, v10
	v_subbrev_co_u32_e32 v7, vcc, 0, v11, vcc
	v_cmp_lt_i64_e64 s[0:1], v[8:9], v[10:11]
	s_branch .LBB100_9
.LBB100_8:                              ;   in Loop: Header=BB100_9 Depth=1
	s_or_b64 exec, exec, s[2:3]
	s_add_i32 s23, s23, 64
	s_cmp_lt_i32 s23, s22
	s_cbranch_scc0 .LBB100_30
.LBB100_9:                              ; =>This Loop Header: Depth=1
                                        ;     Child Loop BB100_12 Depth 2
                                        ;       Child Loop BB100_16 Depth 3
	v_or_b32_e32 v8, s23, v0
	v_ashrrev_i32_e32 v9, 31, v8
	v_mov_b32_e32 v21, 0
	s_and_saveexec_b64 s[18:19], s[0:1]
	s_cbranch_execz .LBB100_18
; %bb.10:                               ;   in Loop: Header=BB100_9 Depth=1
	v_mov_b32_e32 v11, s15
	v_add_co_u32_e64 v10, s[2:3], s14, v8
	v_cmp_gt_i32_e32 vcc, s22, v8
	v_addc_co_u32_e64 v11, s[2:3], v11, v9, s[2:3]
	s_mov_b64 s[20:21], 0
	v_mov_b32_e32 v21, 0
	v_pk_mov_b32 v[12:13], v[4:5], v[4:5] op_sel:[0,1]
	s_branch .LBB100_12
.LBB100_11:                             ;   in Loop: Header=BB100_12 Depth=2
	s_or_b64 exec, exec, s[2:3]
	v_add_co_u32_e64 v12, s[2:3], 64, v12
	v_addc_co_u32_e64 v13, s[2:3], 0, v13, s[2:3]
	v_cmp_ge_i64_e64 s[2:3], v[12:13], v[6:7]
	s_or_b64 s[20:21], s[2:3], s[20:21]
	s_andn2_b64 exec, exec, s[20:21]
	s_cbranch_execz .LBB100_17
.LBB100_12:                             ;   Parent Loop BB100_9 Depth=1
                                        ; =>  This Loop Header: Depth=2
                                        ;       Child Loop BB100_16 Depth 3
	v_add_co_u32_e64 v14, s[2:3], v12, v0
	v_addc_co_u32_e64 v15, s[2:3], 0, v13, s[2:3]
	v_cmp_lt_i64_e64 s[2:3], v[14:15], v[6:7]
	v_mov_b32_e32 v23, 0
	v_mov_b32_e32 v22, 0
	;; [unrolled: 1-line block ×3, first 2 shown]
	s_and_saveexec_b64 s[24:25], s[2:3]
	s_cbranch_execz .LBB100_14
; %bb.13:                               ;   in Loop: Header=BB100_12 Depth=2
	v_lshlrev_b64 v[14:15], 2, v[14:15]
	v_mov_b32_e32 v23, s11
	v_add_co_u32_e64 v22, s[2:3], s10, v14
	v_addc_co_u32_e64 v23, s[2:3], v23, v15, s[2:3]
	v_or_b32_e32 v24, v14, v2
	global_load_dword v23, v[22:23], off
	v_or_b32_e32 v22, 0, v15
	v_or_b32_e32 v14, s16, v24
	v_mov_b32_e32 v25, s13
	v_or_b32_e32 v15, 0, v22
	v_add_co_u32_e64 v14, s[2:3], s12, v14
	v_addc_co_u32_e64 v15, s[2:3], v25, v15, s[2:3]
	global_load_sbyte v26, v[14:15], off
	v_add_co_u32_e64 v14, s[2:3], s12, v24
	v_addc_co_u32_e64 v15, s[2:3], v25, v22, s[2:3]
	global_load_ubyte v22, v[14:15], off
	s_waitcnt vmcnt(2)
	v_subrev_u32_e32 v14, s17, v23
	v_lshlrev_b32_e32 v23, 1, v14
	s_waitcnt vmcnt(1)
	v_cvt_f32_i32_e32 v24, v26
.LBB100_14:                             ;   in Loop: Header=BB100_12 Depth=2
	s_or_b64 exec, exec, s[24:25]
	v_cvt_i32_f32_e32 v14, v24
	ds_write_b32 v1, v23
	s_waitcnt vmcnt(0)
	ds_write_b8 v3, v22
	ds_write_b8 v3, v14 offset:1
	s_waitcnt lgkmcnt(0)
	; wave barrier
	s_waitcnt lgkmcnt(0)
	s_and_saveexec_b64 s[2:3], vcc
	s_cbranch_execz .LBB100_11
; %bb.15:                               ;   in Loop: Header=BB100_12 Depth=2
	s_mov_b32 s24, 0
	v_mov_b32_e32 v14, 0x100
.LBB100_16:                             ;   Parent Loop BB100_9 Depth=1
                                        ;     Parent Loop BB100_12 Depth=2
                                        ; =>    This Inner Loop Header: Depth=3
	v_mov_b32_e32 v15, s24
	ds_read_b64 v[22:23], v15
	s_add_i32 s24, s24, 8
	s_waitcnt lgkmcnt(0)
	v_readfirstlane_b32 s25, v22
	v_readfirstlane_b32 s29, v23
	s_ashr_i32 s31, s25, 31
	s_mul_i32 s33, s25, s7
	v_mad_u64_u32 v[22:23], s[34:35], s25, v20, v[10:11]
	s_add_i32 s25, s25, 1
	s_ashr_i32 s36, s29, 31
	s_mul_i32 s37, s29, s7
	v_mad_u64_u32 v[24:25], s[34:35], s29, v20, v[10:11]
	s_add_i32 s29, s29, 1
	s_mul_i32 s31, s31, s6
	s_ashr_i32 s38, s25, 31
	s_mul_i32 s39, s25, s7
	v_mad_u64_u32 v[26:27], s[34:35], s25, v20, v[10:11]
	s_ashr_i32 s25, s29, 31
	s_mul_i32 s36, s36, s6
	s_mul_i32 s40, s29, s7
	s_add_i32 s33, s33, s31
	s_mul_i32 s38, s38, s6
	s_mul_i32 s25, s25, s6
	v_mad_u64_u32 v[28:29], s[34:35], s29, v20, v[10:11]
	s_add_i32 s37, s37, s36
	v_add_u32_e32 v23, s33, v23
	s_add_i32 s39, s39, s38
	s_add_i32 s40, s40, s25
	v_add_u32_e32 v25, s37, v25
	v_add_u32_e32 v27, s39, v27
	;; [unrolled: 1-line block ×3, first 2 shown]
	global_load_sbyte v15, v[22:23], off
	global_load_sbyte v30, v[26:27], off
	;; [unrolled: 1-line block ×4, first 2 shown]
	ds_read_u16 v22, v14
	ds_read_i8 v23, v14 offset:3
	ds_read_i8 v24, v14 offset:4
	v_add_u32_e32 v14, 6, v14
	s_cmpk_lg_i32 s24, 0x100
	s_waitcnt lgkmcnt(2)
	v_bfe_i32 v25, v22, 0, 8
	v_ashrrev_i16_e32 v22, 8, v22
	v_cvt_f32_i32_sdwa v25, sext(v25) dst_sel:DWORD dst_unused:UNUSED_PAD src0_sel:WORD_0
	v_cvt_f32_i32_sdwa v22, sext(v22) dst_sel:DWORD dst_unused:UNUSED_PAD src0_sel:WORD_0
	s_waitcnt lgkmcnt(1)
	v_cvt_f32_i32_e32 v23, v23
	s_waitcnt lgkmcnt(0)
	v_cvt_f32_i32_e32 v24, v24
	s_waitcnt vmcnt(3)
	v_cvt_f32_i32_e32 v15, v15
	s_waitcnt vmcnt(2)
	;; [unrolled: 2-line block ×4, first 2 shown]
	v_cvt_f32_i32_e32 v28, v32
	v_fmac_f32_e32 v21, v25, v15
	v_fmac_f32_e32 v21, v22, v26
	;; [unrolled: 1-line block ×4, first 2 shown]
	s_cbranch_scc1 .LBB100_16
	s_branch .LBB100_11
.LBB100_17:                             ;   in Loop: Header=BB100_9 Depth=1
	s_or_b64 exec, exec, s[20:21]
.LBB100_18:                             ;   in Loop: Header=BB100_9 Depth=1
	s_or_b64 exec, exec, s[18:19]
	v_cmp_gt_i32_e32 vcc, s22, v8
	s_and_saveexec_b64 s[2:3], vcc
	s_cbranch_execz .LBB100_8
; %bb.19:                               ;   in Loop: Header=BB100_9 Depth=1
	s_mov_b64 s[18:19], -1
	s_and_b64 vcc, exec, s[4:5]
	s_cbranch_vccz .LBB100_25
; %bb.20:                               ;   in Loop: Header=BB100_9 Depth=1
	s_and_b64 vcc, exec, s[8:9]
	s_cbranch_vccz .LBB100_22
; %bb.21:                               ;   in Loop: Header=BB100_9 Depth=1
	v_lshlrev_b64 v[10:11], 2, v[8:9]
	v_add_co_u32_e32 v10, vcc, v18, v10
	v_addc_co_u32_e32 v11, vcc, v19, v11, vcc
	global_load_dword v12, v[10:11], off
	v_mul_f32_e32 v13, s28, v21
	s_mov_b64 s[18:19], 0
	s_waitcnt vmcnt(0)
	v_fmac_f32_e32 v13, s30, v12
	global_store_dword v[10:11], v13, off
.LBB100_22:                             ;   in Loop: Header=BB100_9 Depth=1
	s_andn2_b64 vcc, exec, s[18:19]
	s_cbranch_vccnz .LBB100_24
; %bb.23:                               ;   in Loop: Header=BB100_9 Depth=1
	v_mul_lo_u32 v12, v9, s26
	v_mul_lo_u32 v13, v8, s27
	v_mad_u64_u32 v[10:11], s[18:19], v8, s26, 0
	v_add3_u32 v11, v11, v13, v12
	v_lshlrev_b64 v[10:11], 2, v[10:11]
	v_add_co_u32_e32 v10, vcc, v16, v10
	v_addc_co_u32_e32 v11, vcc, v17, v11, vcc
	global_load_dword v12, v[10:11], off
	v_mul_f32_e32 v13, s28, v21
	s_waitcnt vmcnt(0)
	v_fmac_f32_e32 v13, s30, v12
	global_store_dword v[10:11], v13, off
.LBB100_24:                             ;   in Loop: Header=BB100_9 Depth=1
	s_mov_b64 s[18:19], 0
.LBB100_25:                             ;   in Loop: Header=BB100_9 Depth=1
	s_andn2_b64 vcc, exec, s[18:19]
	s_cbranch_vccnz .LBB100_8
; %bb.26:                               ;   in Loop: Header=BB100_9 Depth=1
	v_mul_f32_e32 v10, s28, v21
	s_mov_b64 s[18:19], -1
	s_and_b64 vcc, exec, s[8:9]
	s_cbranch_vccz .LBB100_28
; %bb.27:                               ;   in Loop: Header=BB100_9 Depth=1
	v_lshlrev_b64 v[12:13], 2, v[8:9]
	v_add_co_u32_e32 v12, vcc, v18, v12
	v_addc_co_u32_e32 v13, vcc, v19, v13, vcc
	global_store_dword v[12:13], v10, off
	s_mov_b64 s[18:19], 0
.LBB100_28:                             ;   in Loop: Header=BB100_9 Depth=1
	s_andn2_b64 vcc, exec, s[18:19]
	s_cbranch_vccnz .LBB100_8
; %bb.29:                               ;   in Loop: Header=BB100_9 Depth=1
	v_mul_lo_u32 v11, v9, s26
	v_mul_lo_u32 v12, v8, s27
	v_mad_u64_u32 v[8:9], s[18:19], v8, s26, 0
	v_add3_u32 v9, v9, v12, v11
	v_lshlrev_b64 v[8:9], 2, v[8:9]
	v_add_co_u32_e32 v8, vcc, v16, v8
	v_addc_co_u32_e32 v9, vcc, v17, v9, vcc
	global_store_dword v[8:9], v10, off
	s_branch .LBB100_8
.LBB100_30:
	s_endpgm
	.section	.rodata,"a",@progbits
	.p2align	6, 0x0
	.amdhsa_kernel _ZN9rocsparseL29bsrmmnt_small_blockdim_kernelILj64ELj64ELj2EliaaffEEv20rocsparse_direction_T3_S2_llNS_24const_host_device_scalarIT7_EEPKT2_PKS2_PKT4_PKT5_llS5_PT6_ll16rocsparse_order_21rocsparse_index_base_b
		.amdhsa_group_segment_fixed_size 448
		.amdhsa_private_segment_fixed_size 0
		.amdhsa_kernarg_size 392
		.amdhsa_user_sgpr_count 6
		.amdhsa_user_sgpr_private_segment_buffer 1
		.amdhsa_user_sgpr_dispatch_ptr 0
		.amdhsa_user_sgpr_queue_ptr 0
		.amdhsa_user_sgpr_kernarg_segment_ptr 1
		.amdhsa_user_sgpr_dispatch_id 0
		.amdhsa_user_sgpr_flat_scratch_init 0
		.amdhsa_user_sgpr_kernarg_preload_length 0
		.amdhsa_user_sgpr_kernarg_preload_offset 0
		.amdhsa_user_sgpr_private_segment_size 0
		.amdhsa_uses_dynamic_stack 0
		.amdhsa_system_sgpr_private_segment_wavefront_offset 0
		.amdhsa_system_sgpr_workgroup_id_x 1
		.amdhsa_system_sgpr_workgroup_id_y 0
		.amdhsa_system_sgpr_workgroup_id_z 0
		.amdhsa_system_sgpr_workgroup_info 0
		.amdhsa_system_vgpr_workitem_id 0
		.amdhsa_next_free_vgpr 33
		.amdhsa_next_free_sgpr 41
		.amdhsa_accum_offset 36
		.amdhsa_reserve_vcc 1
		.amdhsa_reserve_flat_scratch 0
		.amdhsa_float_round_mode_32 0
		.amdhsa_float_round_mode_16_64 0
		.amdhsa_float_denorm_mode_32 3
		.amdhsa_float_denorm_mode_16_64 3
		.amdhsa_dx10_clamp 1
		.amdhsa_ieee_mode 1
		.amdhsa_fp16_overflow 0
		.amdhsa_tg_split 0
		.amdhsa_exception_fp_ieee_invalid_op 0
		.amdhsa_exception_fp_denorm_src 0
		.amdhsa_exception_fp_ieee_div_zero 0
		.amdhsa_exception_fp_ieee_overflow 0
		.amdhsa_exception_fp_ieee_underflow 0
		.amdhsa_exception_fp_ieee_inexact 0
		.amdhsa_exception_int_div_zero 0
	.end_amdhsa_kernel
	.section	.text._ZN9rocsparseL29bsrmmnt_small_blockdim_kernelILj64ELj64ELj2EliaaffEEv20rocsparse_direction_T3_S2_llNS_24const_host_device_scalarIT7_EEPKT2_PKS2_PKT4_PKT5_llS5_PT6_ll16rocsparse_order_21rocsparse_index_base_b,"axG",@progbits,_ZN9rocsparseL29bsrmmnt_small_blockdim_kernelILj64ELj64ELj2EliaaffEEv20rocsparse_direction_T3_S2_llNS_24const_host_device_scalarIT7_EEPKT2_PKS2_PKT4_PKT5_llS5_PT6_ll16rocsparse_order_21rocsparse_index_base_b,comdat
.Lfunc_end100:
	.size	_ZN9rocsparseL29bsrmmnt_small_blockdim_kernelILj64ELj64ELj2EliaaffEEv20rocsparse_direction_T3_S2_llNS_24const_host_device_scalarIT7_EEPKT2_PKS2_PKT4_PKT5_llS5_PT6_ll16rocsparse_order_21rocsparse_index_base_b, .Lfunc_end100-_ZN9rocsparseL29bsrmmnt_small_blockdim_kernelILj64ELj64ELj2EliaaffEEv20rocsparse_direction_T3_S2_llNS_24const_host_device_scalarIT7_EEPKT2_PKS2_PKT4_PKT5_llS5_PT6_ll16rocsparse_order_21rocsparse_index_base_b
                                        ; -- End function
	.section	.AMDGPU.csdata,"",@progbits
; Kernel info:
; codeLenInByte = 1344
; NumSgprs: 45
; NumVgprs: 33
; NumAgprs: 0
; TotalNumVgprs: 33
; ScratchSize: 0
; MemoryBound: 0
; FloatMode: 240
; IeeeMode: 1
; LDSByteSize: 448 bytes/workgroup (compile time only)
; SGPRBlocks: 5
; VGPRBlocks: 4
; NumSGPRsForWavesPerEU: 45
; NumVGPRsForWavesPerEU: 33
; AccumOffset: 36
; Occupancy: 8
; WaveLimiterHint : 0
; COMPUTE_PGM_RSRC2:SCRATCH_EN: 0
; COMPUTE_PGM_RSRC2:USER_SGPR: 6
; COMPUTE_PGM_RSRC2:TRAP_HANDLER: 0
; COMPUTE_PGM_RSRC2:TGID_X_EN: 1
; COMPUTE_PGM_RSRC2:TGID_Y_EN: 0
; COMPUTE_PGM_RSRC2:TGID_Z_EN: 0
; COMPUTE_PGM_RSRC2:TIDIG_COMP_CNT: 0
; COMPUTE_PGM_RSRC3_GFX90A:ACCUM_OFFSET: 8
; COMPUTE_PGM_RSRC3_GFX90A:TG_SPLIT: 0
	.section	.text._ZN9rocsparseL29bsrmmnt_small_blockdim_kernelILj64ELj8ELj2EllaaffEEv20rocsparse_direction_T3_S2_llNS_24const_host_device_scalarIT7_EEPKT2_PKS2_PKT4_PKT5_llS5_PT6_ll16rocsparse_order_21rocsparse_index_base_b,"axG",@progbits,_ZN9rocsparseL29bsrmmnt_small_blockdim_kernelILj64ELj8ELj2EllaaffEEv20rocsparse_direction_T3_S2_llNS_24const_host_device_scalarIT7_EEPKT2_PKS2_PKT4_PKT5_llS5_PT6_ll16rocsparse_order_21rocsparse_index_base_b,comdat
	.globl	_ZN9rocsparseL29bsrmmnt_small_blockdim_kernelILj64ELj8ELj2EllaaffEEv20rocsparse_direction_T3_S2_llNS_24const_host_device_scalarIT7_EEPKT2_PKS2_PKT4_PKT5_llS5_PT6_ll16rocsparse_order_21rocsparse_index_base_b ; -- Begin function _ZN9rocsparseL29bsrmmnt_small_blockdim_kernelILj64ELj8ELj2EllaaffEEv20rocsparse_direction_T3_S2_llNS_24const_host_device_scalarIT7_EEPKT2_PKS2_PKT4_PKT5_llS5_PT6_ll16rocsparse_order_21rocsparse_index_base_b
	.p2align	8
	.type	_ZN9rocsparseL29bsrmmnt_small_blockdim_kernelILj64ELj8ELj2EllaaffEEv20rocsparse_direction_T3_S2_llNS_24const_host_device_scalarIT7_EEPKT2_PKS2_PKT4_PKT5_llS5_PT6_ll16rocsparse_order_21rocsparse_index_base_b,@function
_ZN9rocsparseL29bsrmmnt_small_blockdim_kernelILj64ELj8ELj2EllaaffEEv20rocsparse_direction_T3_S2_llNS_24const_host_device_scalarIT7_EEPKT2_PKS2_PKT4_PKT5_llS5_PT6_ll16rocsparse_order_21rocsparse_index_base_b: ; @_ZN9rocsparseL29bsrmmnt_small_blockdim_kernelILj64ELj8ELj2EllaaffEEv20rocsparse_direction_T3_S2_llNS_24const_host_device_scalarIT7_EEPKT2_PKS2_PKT4_PKT5_llS5_PT6_ll16rocsparse_order_21rocsparse_index_base_b
; %bb.0:
	s_load_dwordx4 s[0:3], s[4:5], 0x80
	s_load_dwordx2 s[24:25], s[4:5], 0x28
	s_load_dwordx2 s[26:27], s[4:5], 0x60
	s_waitcnt lgkmcnt(0)
	s_bitcmp1_b32 s2, 0
	s_cselect_b64 s[8:9], -1, 0
	s_xor_b64 s[2:3], s[8:9], -1
	s_and_b64 vcc, exec, s[8:9]
	s_cbranch_vccnz .LBB101_2
; %bb.1:
	s_load_dword s24, s[24:25], 0x0
.LBB101_2:
	s_andn2_b64 vcc, exec, s[2:3]
	s_cbranch_vccnz .LBB101_4
; %bb.3:
	s_load_dword s26, s[26:27], 0x0
.LBB101_4:
	s_waitcnt lgkmcnt(0)
	v_cmp_eq_f32_e64 s[2:3], s24, 0
	v_cmp_eq_f32_e64 s[8:9], s26, 1.0
	s_and_b64 s[2:3], s[2:3], s[8:9]
	s_and_b64 vcc, exec, s[2:3]
	s_cbranch_vccnz .LBB101_30
; %bb.5:
	s_load_dword s2, s[4:5], 0x9c
	s_load_dwordx4 s[16:19], s[4:5], 0x8
	v_mov_b32_e32 v3, 0
	s_waitcnt lgkmcnt(0)
	s_and_b32 s2, s2, 0xffff
	s_mul_i32 s6, s6, s2
	v_add_u32_e32 v1, s6, v0
	v_lshrrev_b32_e32 v2, 4, v1
	v_cmp_gt_i64_e32 vcc, s[16:17], v[2:3]
	s_and_saveexec_b64 s[2:3], vcc
	s_cbranch_execz .LBB101_30
; %bb.6:
	v_cmp_lt_i64_e64 s[2:3], s[18:19], 1
	s_and_b64 vcc, exec, s[2:3]
	s_cbranch_vccnz .LBB101_30
; %bb.7:
	s_load_dwordx8 s[8:15], s[4:5], 0x30
	v_lshlrev_b32_e32 v2, 3, v2
	v_lshrrev_b32_e32 v12, 3, v1
	s_cmp_lg_u32 s0, 1
	s_cselect_b64 s[16:17], -1, 0
	s_waitcnt lgkmcnt(0)
	global_load_dwordx4 v[8:11], v2, s[8:9]
	s_load_dword s2, s[4:5], 0x0
	s_load_dwordx4 s[20:23], s[4:5], 0x68
	s_load_dwordx2 s[6:7], s[4:5], 0x50
	v_and_b32_e32 v2, 7, v0
	v_lshrrev_b32_e32 v0, 3, v0
	s_waitcnt lgkmcnt(0)
	s_cmp_eq_u32 s2, 0
	v_mad_u64_u32 v[6:7], s[2:3], v12, s22, 0
	v_bfe_u32 v4, v1, 3, 1
	v_lshlrev_b32_e32 v3, 6, v0
	v_mul_u32_u24_e32 v0, 24, v0
	v_lshlrev_b32_e32 v1, 2, v12
	s_cselect_b64 s[2:3], -1, 0
	v_or_b32_e32 v19, 0x200, v0
	v_mov_b32_e32 v0, v7
	v_add_co_u32_e32 v21, vcc, s20, v1
	v_cndmask_b32_e64 v1, 0, 1, s[2:3]
	v_mad_u64_u32 v[12:13], s[4:5], v12, s23, v[0:1]
	v_mov_b32_e32 v5, 0
	v_mov_b32_e32 v14, s21
	;; [unrolled: 1-line block ×3, first 2 shown]
	v_addc_co_u32_e32 v22, vcc, 0, v14, vcc
	v_lshlrev_b64 v[0:1], v1, v[4:5]
	v_lshlrev_b64 v[4:5], 2, v[6:7]
	v_add_co_u32_e32 v23, vcc, s20, v4
	v_addc_co_u32_e32 v24, vcc, v14, v5, vcc
	s_and_b64 s[2:3], s[2:3], exec
	s_mov_b32 s25, 0
	s_mov_b32 s27, s1
	v_cmp_neq_f32_e64 s[8:9], s26, 0
	v_lshl_or_b32 v18, v2, 3, v3
	v_mad_u32_u24 v20, v2, 3, v19
	s_cselect_b32 s33, 1, 2
	s_mov_b64 s[20:21], 0
	s_waitcnt vmcnt(0)
	v_subrev_co_u32_e32 v4, vcc, s1, v8
	v_subbrev_co_u32_e32 v5, vcc, 0, v9, vcc
	v_subrev_co_u32_e32 v6, vcc, s1, v10
	v_subbrev_co_u32_e32 v7, vcc, 0, v11, vcc
	v_cmp_lt_i64_e64 s[0:1], v[8:9], v[10:11]
	s_branch .LBB101_9
.LBB101_8:                              ;   in Loop: Header=BB101_9 Depth=1
	s_or_b64 exec, exec, s[2:3]
	s_add_u32 s20, s20, 8
	s_addc_u32 s21, s21, 0
	v_pk_mov_b32 v[8:9], s[18:19], s[18:19] op_sel:[0,1]
	v_cmp_lt_i64_e32 vcc, s[20:21], v[8:9]
	s_cbranch_vccz .LBB101_30
.LBB101_9:                              ; =>This Loop Header: Depth=1
                                        ;     Child Loop BB101_12 Depth 2
                                        ;       Child Loop BB101_16 Depth 3
	v_or_b32_e64 v9, s21, 0
	v_or_b32_e32 v8, s20, v2
	v_mov_b32_e32 v25, 0
	s_and_saveexec_b64 s[28:29], s[0:1]
	s_cbranch_execz .LBB101_18
; %bb.10:                               ;   in Loop: Header=BB101_9 Depth=1
	v_mov_b32_e32 v11, s15
	v_add_co_u32_e64 v10, s[2:3], s14, v8
	v_cmp_gt_i64_e32 vcc, s[18:19], v[8:9]
	v_addc_co_u32_e64 v11, s[2:3], v11, v9, s[2:3]
	s_mov_b64 s[30:31], 0
	v_mov_b32_e32 v25, 0
	v_pk_mov_b32 v[12:13], v[4:5], v[4:5] op_sel:[0,1]
	s_branch .LBB101_12
.LBB101_11:                             ;   in Loop: Header=BB101_12 Depth=2
	s_or_b64 exec, exec, s[34:35]
	v_add_co_u32_e64 v12, s[2:3], 8, v12
	v_addc_co_u32_e64 v13, s[2:3], 0, v13, s[2:3]
	v_cmp_ge_i64_e64 s[2:3], v[12:13], v[6:7]
	s_or_b64 s[30:31], s[2:3], s[30:31]
	s_andn2_b64 exec, exec, s[30:31]
	s_cbranch_execz .LBB101_17
.LBB101_12:                             ;   Parent Loop BB101_9 Depth=1
                                        ; =>  This Loop Header: Depth=2
                                        ;       Child Loop BB101_16 Depth 3
	v_add_co_u32_e64 v14, s[2:3], v12, v2
	v_addc_co_u32_e64 v15, s[2:3], 0, v13, s[2:3]
	v_cmp_lt_i64_e64 s[2:3], v[14:15], v[6:7]
	v_pk_mov_b32 v[16:17], 0, 0
	v_mov_b32_e32 v26, 0
	v_mov_b32_e32 v27, 0
	s_and_saveexec_b64 s[4:5], s[2:3]
	s_cbranch_execz .LBB101_14
; %bb.13:                               ;   in Loop: Header=BB101_12 Depth=2
	v_lshlrev_b64 v[16:17], 3, v[14:15]
	v_lshlrev_b64 v[14:15], 2, v[14:15]
	v_mov_b32_e32 v26, s11
	v_add_co_u32_e64 v16, s[2:3], s10, v16
	v_or_b32_e32 v27, v14, v0
	v_addc_co_u32_e64 v17, s[2:3], v26, v17, s[2:3]
	v_or_b32_e32 v26, v15, v1
	v_or_b32_e32 v14, s33, v27
	v_mov_b32_e32 v30, s13
	v_or_b32_e32 v15, 0, v26
	v_add_co_u32_e64 v14, s[2:3], s12, v14
	v_addc_co_u32_e64 v15, s[2:3], v30, v15, s[2:3]
	global_load_sbyte v31, v[14:15], off
	global_load_dwordx2 v[28:29], v[16:17], off
	v_add_co_u32_e64 v14, s[2:3], s12, v27
	v_addc_co_u32_e64 v15, s[2:3], v30, v26, s[2:3]
	global_load_ubyte v26, v[14:15], off
	v_mov_b32_e32 v15, s25
	s_waitcnt vmcnt(2)
	v_cvt_f32_i32_e32 v27, v31
	s_waitcnt vmcnt(1)
	v_subrev_co_u32_e64 v14, s[2:3], s27, v28
	v_subb_co_u32_e64 v15, s[2:3], v29, v15, s[2:3]
	v_lshlrev_b64 v[16:17], 1, v[14:15]
.LBB101_14:                             ;   in Loop: Header=BB101_12 Depth=2
	s_or_b64 exec, exec, s[4:5]
	v_cvt_i32_f32_e32 v14, v27
	ds_write_b64 v18, v[16:17]
	s_waitcnt vmcnt(0)
	ds_write_b8 v20, v26
	ds_write_b8 v20, v14 offset:1
	s_waitcnt lgkmcnt(0)
	; wave barrier
	s_waitcnt lgkmcnt(0)
	s_and_saveexec_b64 s[34:35], vcc
	s_cbranch_execz .LBB101_11
; %bb.15:                               ;   in Loop: Header=BB101_12 Depth=2
	s_mov_b32 s36, 0
	v_mov_b32_e32 v14, v3
.LBB101_16:                             ;   Parent Loop BB101_9 Depth=1
                                        ;     Parent Loop BB101_12 Depth=2
                                        ; =>    This Inner Loop Header: Depth=3
	ds_read_b128 v[26:29], v14
	v_mov_b32_e32 v15, s7
	v_add_u32_e32 v14, 16, v14
	s_waitcnt lgkmcnt(0)
	v_mad_u64_u32 v[16:17], s[2:3], v26, s6, v[10:11]
	v_mul_lo_u32 v30, v26, s7
	v_mul_lo_u32 v31, v27, s6
	v_mad_u64_u32 v[26:27], s[2:3], v28, s6, v[10:11]
	v_mul_lo_u32 v28, v28, s7
	v_mul_lo_u32 v29, v29, s6
	v_add3_u32 v17, v31, v17, v30
	v_add3_u32 v27, v29, v27, v28
	v_add_co_u32_e64 v28, s[2:3], s6, v26
	v_add_co_u32_e64 v30, s[4:5], s6, v16
	v_addc_co_u32_e64 v31, s[4:5], v17, v15, s[4:5]
	v_addc_co_u32_e64 v29, s[2:3], v27, v15, s[2:3]
	global_load_sbyte v15, v[16:17], off
	global_load_sbyte v32, v[30:31], off
	global_load_sbyte v33, v[26:27], off
	global_load_sbyte v34, v[28:29], off
	v_add_u32_e32 v16, s36, v19
	ds_read_u16 v17, v16
	ds_read_i8 v26, v16 offset:3
	ds_read_i8 v16, v16 offset:4
	s_add_i32 s36, s36, 6
	s_cmp_lg_u32 s36, 24
	s_waitcnt lgkmcnt(2)
	v_bfe_i32 v27, v17, 0, 8
	v_ashrrev_i16_e32 v17, 8, v17
	v_cvt_f32_i32_sdwa v27, sext(v27) dst_sel:DWORD dst_unused:UNUSED_PAD src0_sel:WORD_0
	v_cvt_f32_i32_sdwa v17, sext(v17) dst_sel:DWORD dst_unused:UNUSED_PAD src0_sel:WORD_0
	s_waitcnt lgkmcnt(1)
	v_cvt_f32_i32_e32 v26, v26
	s_waitcnt lgkmcnt(0)
	v_cvt_f32_i32_e32 v16, v16
	s_waitcnt vmcnt(3)
	v_cvt_f32_i32_e32 v15, v15
	s_waitcnt vmcnt(2)
	;; [unrolled: 2-line block ×4, first 2 shown]
	v_cvt_f32_i32_e32 v30, v34
	v_fmac_f32_e32 v25, v27, v15
	v_fmac_f32_e32 v25, v17, v28
	;; [unrolled: 1-line block ×4, first 2 shown]
	s_cbranch_scc1 .LBB101_16
	s_branch .LBB101_11
.LBB101_17:                             ;   in Loop: Header=BB101_9 Depth=1
	s_or_b64 exec, exec, s[30:31]
.LBB101_18:                             ;   in Loop: Header=BB101_9 Depth=1
	s_or_b64 exec, exec, s[28:29]
	v_cmp_gt_i64_e32 vcc, s[18:19], v[8:9]
	s_and_saveexec_b64 s[2:3], vcc
	s_cbranch_execz .LBB101_8
; %bb.19:                               ;   in Loop: Header=BB101_9 Depth=1
	s_mov_b64 s[4:5], -1
	s_and_b64 vcc, exec, s[8:9]
	s_cbranch_vccz .LBB101_25
; %bb.20:                               ;   in Loop: Header=BB101_9 Depth=1
	s_and_b64 vcc, exec, s[16:17]
	s_cbranch_vccz .LBB101_22
; %bb.21:                               ;   in Loop: Header=BB101_9 Depth=1
	v_lshlrev_b64 v[10:11], 2, v[8:9]
	v_add_co_u32_e32 v10, vcc, v23, v10
	v_addc_co_u32_e32 v11, vcc, v24, v11, vcc
	global_load_dword v12, v[10:11], off
	v_mul_f32_e32 v13, s24, v25
	s_mov_b64 s[4:5], 0
	s_waitcnt vmcnt(0)
	v_fmac_f32_e32 v13, s26, v12
	global_store_dword v[10:11], v13, off
.LBB101_22:                             ;   in Loop: Header=BB101_9 Depth=1
	s_andn2_b64 vcc, exec, s[4:5]
	s_cbranch_vccnz .LBB101_24
; %bb.23:                               ;   in Loop: Header=BB101_9 Depth=1
	v_mul_lo_u32 v12, v9, s22
	v_mul_lo_u32 v13, v8, s23
	v_mad_u64_u32 v[10:11], s[4:5], v8, s22, 0
	v_add3_u32 v11, v11, v13, v12
	v_lshlrev_b64 v[10:11], 2, v[10:11]
	v_add_co_u32_e32 v10, vcc, v21, v10
	v_addc_co_u32_e32 v11, vcc, v22, v11, vcc
	global_load_dword v12, v[10:11], off
	v_mul_f32_e32 v13, s24, v25
	s_waitcnt vmcnt(0)
	v_fmac_f32_e32 v13, s26, v12
	global_store_dword v[10:11], v13, off
.LBB101_24:                             ;   in Loop: Header=BB101_9 Depth=1
	s_mov_b64 s[4:5], 0
.LBB101_25:                             ;   in Loop: Header=BB101_9 Depth=1
	s_andn2_b64 vcc, exec, s[4:5]
	s_cbranch_vccnz .LBB101_8
; %bb.26:                               ;   in Loop: Header=BB101_9 Depth=1
	v_mul_f32_e32 v10, s24, v25
	s_mov_b64 s[4:5], -1
	s_and_b64 vcc, exec, s[16:17]
	s_cbranch_vccz .LBB101_28
; %bb.27:                               ;   in Loop: Header=BB101_9 Depth=1
	v_lshlrev_b64 v[12:13], 2, v[8:9]
	v_add_co_u32_e32 v12, vcc, v23, v12
	v_addc_co_u32_e32 v13, vcc, v24, v13, vcc
	global_store_dword v[12:13], v10, off
	s_mov_b64 s[4:5], 0
.LBB101_28:                             ;   in Loop: Header=BB101_9 Depth=1
	s_andn2_b64 vcc, exec, s[4:5]
	s_cbranch_vccnz .LBB101_8
; %bb.29:                               ;   in Loop: Header=BB101_9 Depth=1
	v_mul_lo_u32 v11, v9, s22
	v_mul_lo_u32 v12, v8, s23
	v_mad_u64_u32 v[8:9], s[4:5], v8, s22, 0
	v_add3_u32 v9, v9, v12, v11
	v_lshlrev_b64 v[8:9], 2, v[8:9]
	v_add_co_u32_e32 v8, vcc, v21, v8
	v_addc_co_u32_e32 v9, vcc, v22, v9, vcc
	global_store_dword v[8:9], v10, off
	s_branch .LBB101_8
.LBB101_30:
	s_endpgm
	.section	.rodata,"a",@progbits
	.p2align	6, 0x0
	.amdhsa_kernel _ZN9rocsparseL29bsrmmnt_small_blockdim_kernelILj64ELj8ELj2EllaaffEEv20rocsparse_direction_T3_S2_llNS_24const_host_device_scalarIT7_EEPKT2_PKS2_PKT4_PKT5_llS5_PT6_ll16rocsparse_order_21rocsparse_index_base_b
		.amdhsa_group_segment_fixed_size 704
		.amdhsa_private_segment_fixed_size 0
		.amdhsa_kernarg_size 400
		.amdhsa_user_sgpr_count 6
		.amdhsa_user_sgpr_private_segment_buffer 1
		.amdhsa_user_sgpr_dispatch_ptr 0
		.amdhsa_user_sgpr_queue_ptr 0
		.amdhsa_user_sgpr_kernarg_segment_ptr 1
		.amdhsa_user_sgpr_dispatch_id 0
		.amdhsa_user_sgpr_flat_scratch_init 0
		.amdhsa_user_sgpr_kernarg_preload_length 0
		.amdhsa_user_sgpr_kernarg_preload_offset 0
		.amdhsa_user_sgpr_private_segment_size 0
		.amdhsa_uses_dynamic_stack 0
		.amdhsa_system_sgpr_private_segment_wavefront_offset 0
		.amdhsa_system_sgpr_workgroup_id_x 1
		.amdhsa_system_sgpr_workgroup_id_y 0
		.amdhsa_system_sgpr_workgroup_id_z 0
		.amdhsa_system_sgpr_workgroup_info 0
		.amdhsa_system_vgpr_workitem_id 0
		.amdhsa_next_free_vgpr 35
		.amdhsa_next_free_sgpr 37
		.amdhsa_accum_offset 36
		.amdhsa_reserve_vcc 1
		.amdhsa_reserve_flat_scratch 0
		.amdhsa_float_round_mode_32 0
		.amdhsa_float_round_mode_16_64 0
		.amdhsa_float_denorm_mode_32 3
		.amdhsa_float_denorm_mode_16_64 3
		.amdhsa_dx10_clamp 1
		.amdhsa_ieee_mode 1
		.amdhsa_fp16_overflow 0
		.amdhsa_tg_split 0
		.amdhsa_exception_fp_ieee_invalid_op 0
		.amdhsa_exception_fp_denorm_src 0
		.amdhsa_exception_fp_ieee_div_zero 0
		.amdhsa_exception_fp_ieee_overflow 0
		.amdhsa_exception_fp_ieee_underflow 0
		.amdhsa_exception_fp_ieee_inexact 0
		.amdhsa_exception_int_div_zero 0
	.end_amdhsa_kernel
	.section	.text._ZN9rocsparseL29bsrmmnt_small_blockdim_kernelILj64ELj8ELj2EllaaffEEv20rocsparse_direction_T3_S2_llNS_24const_host_device_scalarIT7_EEPKT2_PKS2_PKT4_PKT5_llS5_PT6_ll16rocsparse_order_21rocsparse_index_base_b,"axG",@progbits,_ZN9rocsparseL29bsrmmnt_small_blockdim_kernelILj64ELj8ELj2EllaaffEEv20rocsparse_direction_T3_S2_llNS_24const_host_device_scalarIT7_EEPKT2_PKS2_PKT4_PKT5_llS5_PT6_ll16rocsparse_order_21rocsparse_index_base_b,comdat
.Lfunc_end101:
	.size	_ZN9rocsparseL29bsrmmnt_small_blockdim_kernelILj64ELj8ELj2EllaaffEEv20rocsparse_direction_T3_S2_llNS_24const_host_device_scalarIT7_EEPKT2_PKS2_PKT4_PKT5_llS5_PT6_ll16rocsparse_order_21rocsparse_index_base_b, .Lfunc_end101-_ZN9rocsparseL29bsrmmnt_small_blockdim_kernelILj64ELj8ELj2EllaaffEEv20rocsparse_direction_T3_S2_llNS_24const_host_device_scalarIT7_EEPKT2_PKS2_PKT4_PKT5_llS5_PT6_ll16rocsparse_order_21rocsparse_index_base_b
                                        ; -- End function
	.section	.AMDGPU.csdata,"",@progbits
; Kernel info:
; codeLenInByte = 1416
; NumSgprs: 41
; NumVgprs: 35
; NumAgprs: 0
; TotalNumVgprs: 35
; ScratchSize: 0
; MemoryBound: 0
; FloatMode: 240
; IeeeMode: 1
; LDSByteSize: 704 bytes/workgroup (compile time only)
; SGPRBlocks: 5
; VGPRBlocks: 4
; NumSGPRsForWavesPerEU: 41
; NumVGPRsForWavesPerEU: 35
; AccumOffset: 36
; Occupancy: 8
; WaveLimiterHint : 1
; COMPUTE_PGM_RSRC2:SCRATCH_EN: 0
; COMPUTE_PGM_RSRC2:USER_SGPR: 6
; COMPUTE_PGM_RSRC2:TRAP_HANDLER: 0
; COMPUTE_PGM_RSRC2:TGID_X_EN: 1
; COMPUTE_PGM_RSRC2:TGID_Y_EN: 0
; COMPUTE_PGM_RSRC2:TGID_Z_EN: 0
; COMPUTE_PGM_RSRC2:TIDIG_COMP_CNT: 0
; COMPUTE_PGM_RSRC3_GFX90A:ACCUM_OFFSET: 8
; COMPUTE_PGM_RSRC3_GFX90A:TG_SPLIT: 0
	.section	.text._ZN9rocsparseL29bsrmmnt_small_blockdim_kernelILj64ELj16ELj2EllaaffEEv20rocsparse_direction_T3_S2_llNS_24const_host_device_scalarIT7_EEPKT2_PKS2_PKT4_PKT5_llS5_PT6_ll16rocsparse_order_21rocsparse_index_base_b,"axG",@progbits,_ZN9rocsparseL29bsrmmnt_small_blockdim_kernelILj64ELj16ELj2EllaaffEEv20rocsparse_direction_T3_S2_llNS_24const_host_device_scalarIT7_EEPKT2_PKS2_PKT4_PKT5_llS5_PT6_ll16rocsparse_order_21rocsparse_index_base_b,comdat
	.globl	_ZN9rocsparseL29bsrmmnt_small_blockdim_kernelILj64ELj16ELj2EllaaffEEv20rocsparse_direction_T3_S2_llNS_24const_host_device_scalarIT7_EEPKT2_PKS2_PKT4_PKT5_llS5_PT6_ll16rocsparse_order_21rocsparse_index_base_b ; -- Begin function _ZN9rocsparseL29bsrmmnt_small_blockdim_kernelILj64ELj16ELj2EllaaffEEv20rocsparse_direction_T3_S2_llNS_24const_host_device_scalarIT7_EEPKT2_PKS2_PKT4_PKT5_llS5_PT6_ll16rocsparse_order_21rocsparse_index_base_b
	.p2align	8
	.type	_ZN9rocsparseL29bsrmmnt_small_blockdim_kernelILj64ELj16ELj2EllaaffEEv20rocsparse_direction_T3_S2_llNS_24const_host_device_scalarIT7_EEPKT2_PKS2_PKT4_PKT5_llS5_PT6_ll16rocsparse_order_21rocsparse_index_base_b,@function
_ZN9rocsparseL29bsrmmnt_small_blockdim_kernelILj64ELj16ELj2EllaaffEEv20rocsparse_direction_T3_S2_llNS_24const_host_device_scalarIT7_EEPKT2_PKS2_PKT4_PKT5_llS5_PT6_ll16rocsparse_order_21rocsparse_index_base_b: ; @_ZN9rocsparseL29bsrmmnt_small_blockdim_kernelILj64ELj16ELj2EllaaffEEv20rocsparse_direction_T3_S2_llNS_24const_host_device_scalarIT7_EEPKT2_PKS2_PKT4_PKT5_llS5_PT6_ll16rocsparse_order_21rocsparse_index_base_b
; %bb.0:
	s_load_dwordx4 s[0:3], s[4:5], 0x80
	s_load_dwordx2 s[24:25], s[4:5], 0x28
	s_load_dwordx2 s[26:27], s[4:5], 0x60
	s_waitcnt lgkmcnt(0)
	s_bitcmp1_b32 s2, 0
	s_cselect_b64 s[8:9], -1, 0
	s_xor_b64 s[2:3], s[8:9], -1
	s_and_b64 vcc, exec, s[8:9]
	s_cbranch_vccnz .LBB102_2
; %bb.1:
	s_load_dword s24, s[24:25], 0x0
.LBB102_2:
	s_andn2_b64 vcc, exec, s[2:3]
	s_cbranch_vccnz .LBB102_4
; %bb.3:
	s_load_dword s26, s[26:27], 0x0
.LBB102_4:
	s_waitcnt lgkmcnt(0)
	v_cmp_eq_f32_e64 s[2:3], s24, 0
	v_cmp_eq_f32_e64 s[8:9], s26, 1.0
	s_and_b64 s[2:3], s[2:3], s[8:9]
	s_and_b64 vcc, exec, s[2:3]
	s_cbranch_vccnz .LBB102_30
; %bb.5:
	s_load_dword s2, s[4:5], 0x9c
	s_load_dwordx4 s[16:19], s[4:5], 0x8
	v_mov_b32_e32 v3, 0
	s_waitcnt lgkmcnt(0)
	s_and_b32 s2, s2, 0xffff
	s_mul_i32 s6, s6, s2
	v_add_u32_e32 v1, s6, v0
	v_lshrrev_b32_e32 v2, 5, v1
	v_cmp_gt_i64_e32 vcc, s[16:17], v[2:3]
	s_and_saveexec_b64 s[2:3], vcc
	s_cbranch_execz .LBB102_30
; %bb.6:
	v_cmp_lt_i64_e64 s[2:3], s[18:19], 1
	s_and_b64 vcc, exec, s[2:3]
	s_cbranch_vccnz .LBB102_30
; %bb.7:
	s_load_dwordx8 s[8:15], s[4:5], 0x30
	v_lshlrev_b32_e32 v2, 3, v2
	v_lshrrev_b32_e32 v12, 4, v1
	s_cmp_lg_u32 s0, 1
	s_cselect_b64 s[16:17], -1, 0
	s_waitcnt lgkmcnt(0)
	global_load_dwordx4 v[8:11], v2, s[8:9]
	s_load_dword s2, s[4:5], 0x0
	s_load_dwordx4 s[20:23], s[4:5], 0x68
	s_load_dwordx2 s[6:7], s[4:5], 0x50
	v_and_b32_e32 v2, 15, v0
	v_lshrrev_b32_e32 v0, 4, v0
	s_waitcnt lgkmcnt(0)
	s_cmp_eq_u32 s2, 0
	v_mad_u64_u32 v[6:7], s[2:3], v12, s22, 0
	v_bfe_u32 v4, v1, 4, 1
	v_lshlrev_b32_e32 v3, 7, v0
	v_mul_u32_u24_e32 v0, 48, v0
	v_lshlrev_b32_e32 v1, 2, v12
	s_cselect_b64 s[2:3], -1, 0
	v_or_b32_e32 v19, 0x200, v0
	v_mov_b32_e32 v0, v7
	v_add_co_u32_e32 v21, vcc, s20, v1
	v_cndmask_b32_e64 v1, 0, 1, s[2:3]
	v_mad_u64_u32 v[12:13], s[4:5], v12, s23, v[0:1]
	v_mov_b32_e32 v5, 0
	v_mov_b32_e32 v14, s21
	v_mov_b32_e32 v7, v12
	v_addc_co_u32_e32 v22, vcc, 0, v14, vcc
	v_lshlrev_b64 v[0:1], v1, v[4:5]
	v_lshlrev_b64 v[4:5], 2, v[6:7]
	v_add_co_u32_e32 v23, vcc, s20, v4
	v_addc_co_u32_e32 v24, vcc, v14, v5, vcc
	s_and_b64 s[2:3], s[2:3], exec
	s_mov_b32 s25, 0
	s_mov_b32 s27, s1
	v_cmp_neq_f32_e64 s[8:9], s26, 0
	v_lshl_or_b32 v18, v2, 3, v3
	v_mad_u32_u24 v20, v2, 3, v19
	s_cselect_b32 s33, 1, 2
	s_mov_b64 s[20:21], 0
	s_waitcnt vmcnt(0)
	v_subrev_co_u32_e32 v4, vcc, s1, v8
	v_subbrev_co_u32_e32 v5, vcc, 0, v9, vcc
	v_subrev_co_u32_e32 v6, vcc, s1, v10
	v_subbrev_co_u32_e32 v7, vcc, 0, v11, vcc
	v_cmp_lt_i64_e64 s[0:1], v[8:9], v[10:11]
	s_branch .LBB102_9
.LBB102_8:                              ;   in Loop: Header=BB102_9 Depth=1
	s_or_b64 exec, exec, s[2:3]
	s_add_u32 s20, s20, 16
	s_addc_u32 s21, s21, 0
	v_pk_mov_b32 v[8:9], s[18:19], s[18:19] op_sel:[0,1]
	v_cmp_lt_i64_e32 vcc, s[20:21], v[8:9]
	s_cbranch_vccz .LBB102_30
.LBB102_9:                              ; =>This Loop Header: Depth=1
                                        ;     Child Loop BB102_12 Depth 2
                                        ;       Child Loop BB102_16 Depth 3
	v_or_b32_e64 v9, s21, 0
	v_or_b32_e32 v8, s20, v2
	v_mov_b32_e32 v25, 0
	s_and_saveexec_b64 s[28:29], s[0:1]
	s_cbranch_execz .LBB102_18
; %bb.10:                               ;   in Loop: Header=BB102_9 Depth=1
	v_mov_b32_e32 v11, s15
	v_add_co_u32_e64 v10, s[2:3], s14, v8
	v_cmp_gt_i64_e32 vcc, s[18:19], v[8:9]
	v_addc_co_u32_e64 v11, s[2:3], v11, v9, s[2:3]
	s_mov_b64 s[30:31], 0
	v_mov_b32_e32 v25, 0
	v_pk_mov_b32 v[12:13], v[4:5], v[4:5] op_sel:[0,1]
	s_branch .LBB102_12
.LBB102_11:                             ;   in Loop: Header=BB102_12 Depth=2
	s_or_b64 exec, exec, s[34:35]
	v_add_co_u32_e64 v12, s[2:3], 16, v12
	v_addc_co_u32_e64 v13, s[2:3], 0, v13, s[2:3]
	v_cmp_ge_i64_e64 s[2:3], v[12:13], v[6:7]
	s_or_b64 s[30:31], s[2:3], s[30:31]
	s_andn2_b64 exec, exec, s[30:31]
	s_cbranch_execz .LBB102_17
.LBB102_12:                             ;   Parent Loop BB102_9 Depth=1
                                        ; =>  This Loop Header: Depth=2
                                        ;       Child Loop BB102_16 Depth 3
	v_add_co_u32_e64 v14, s[2:3], v12, v2
	v_addc_co_u32_e64 v15, s[2:3], 0, v13, s[2:3]
	v_cmp_lt_i64_e64 s[2:3], v[14:15], v[6:7]
	v_pk_mov_b32 v[16:17], 0, 0
	v_mov_b32_e32 v26, 0
	v_mov_b32_e32 v27, 0
	s_and_saveexec_b64 s[4:5], s[2:3]
	s_cbranch_execz .LBB102_14
; %bb.13:                               ;   in Loop: Header=BB102_12 Depth=2
	v_lshlrev_b64 v[16:17], 3, v[14:15]
	v_lshlrev_b64 v[14:15], 2, v[14:15]
	v_mov_b32_e32 v26, s11
	v_add_co_u32_e64 v16, s[2:3], s10, v16
	v_or_b32_e32 v27, v14, v0
	v_addc_co_u32_e64 v17, s[2:3], v26, v17, s[2:3]
	v_or_b32_e32 v26, v15, v1
	v_or_b32_e32 v14, s33, v27
	v_mov_b32_e32 v30, s13
	v_or_b32_e32 v15, 0, v26
	v_add_co_u32_e64 v14, s[2:3], s12, v14
	v_addc_co_u32_e64 v15, s[2:3], v30, v15, s[2:3]
	global_load_sbyte v31, v[14:15], off
	global_load_dwordx2 v[28:29], v[16:17], off
	v_add_co_u32_e64 v14, s[2:3], s12, v27
	v_addc_co_u32_e64 v15, s[2:3], v30, v26, s[2:3]
	global_load_ubyte v26, v[14:15], off
	v_mov_b32_e32 v15, s25
	s_waitcnt vmcnt(2)
	v_cvt_f32_i32_e32 v27, v31
	s_waitcnt vmcnt(1)
	v_subrev_co_u32_e64 v14, s[2:3], s27, v28
	v_subb_co_u32_e64 v15, s[2:3], v29, v15, s[2:3]
	v_lshlrev_b64 v[16:17], 1, v[14:15]
.LBB102_14:                             ;   in Loop: Header=BB102_12 Depth=2
	s_or_b64 exec, exec, s[4:5]
	v_cvt_i32_f32_e32 v14, v27
	ds_write_b64 v18, v[16:17]
	s_waitcnt vmcnt(0)
	ds_write_b8 v20, v26
	ds_write_b8 v20, v14 offset:1
	s_waitcnt lgkmcnt(0)
	; wave barrier
	s_waitcnt lgkmcnt(0)
	s_and_saveexec_b64 s[34:35], vcc
	s_cbranch_execz .LBB102_11
; %bb.15:                               ;   in Loop: Header=BB102_12 Depth=2
	s_mov_b32 s36, 0
	v_mov_b32_e32 v14, v3
.LBB102_16:                             ;   Parent Loop BB102_9 Depth=1
                                        ;     Parent Loop BB102_12 Depth=2
                                        ; =>    This Inner Loop Header: Depth=3
	ds_read_b128 v[26:29], v14
	v_mov_b32_e32 v15, s7
	v_add_u32_e32 v14, 16, v14
	s_waitcnt lgkmcnt(0)
	v_mad_u64_u32 v[16:17], s[2:3], v26, s6, v[10:11]
	v_mul_lo_u32 v30, v26, s7
	v_mul_lo_u32 v31, v27, s6
	v_mad_u64_u32 v[26:27], s[2:3], v28, s6, v[10:11]
	v_mul_lo_u32 v28, v28, s7
	v_mul_lo_u32 v29, v29, s6
	v_add3_u32 v17, v31, v17, v30
	v_add3_u32 v27, v29, v27, v28
	v_add_co_u32_e64 v28, s[2:3], s6, v26
	v_add_co_u32_e64 v30, s[4:5], s6, v16
	v_addc_co_u32_e64 v31, s[4:5], v17, v15, s[4:5]
	v_addc_co_u32_e64 v29, s[2:3], v27, v15, s[2:3]
	global_load_sbyte v15, v[16:17], off
	global_load_sbyte v32, v[30:31], off
	;; [unrolled: 1-line block ×4, first 2 shown]
	v_add_u32_e32 v16, s36, v19
	ds_read_u16 v17, v16
	ds_read_i8 v26, v16 offset:3
	ds_read_i8 v16, v16 offset:4
	s_add_i32 s36, s36, 6
	s_cmp_lg_u32 s36, 48
	s_waitcnt lgkmcnt(2)
	v_bfe_i32 v27, v17, 0, 8
	v_ashrrev_i16_e32 v17, 8, v17
	v_cvt_f32_i32_sdwa v27, sext(v27) dst_sel:DWORD dst_unused:UNUSED_PAD src0_sel:WORD_0
	v_cvt_f32_i32_sdwa v17, sext(v17) dst_sel:DWORD dst_unused:UNUSED_PAD src0_sel:WORD_0
	s_waitcnt lgkmcnt(1)
	v_cvt_f32_i32_e32 v26, v26
	s_waitcnt lgkmcnt(0)
	v_cvt_f32_i32_e32 v16, v16
	s_waitcnt vmcnt(3)
	v_cvt_f32_i32_e32 v15, v15
	s_waitcnt vmcnt(2)
	v_cvt_f32_i32_e32 v28, v32
	s_waitcnt vmcnt(1)
	v_cvt_f32_i32_e32 v29, v33
	s_waitcnt vmcnt(0)
	v_cvt_f32_i32_e32 v30, v34
	v_fmac_f32_e32 v25, v27, v15
	v_fmac_f32_e32 v25, v17, v28
	;; [unrolled: 1-line block ×4, first 2 shown]
	s_cbranch_scc1 .LBB102_16
	s_branch .LBB102_11
.LBB102_17:                             ;   in Loop: Header=BB102_9 Depth=1
	s_or_b64 exec, exec, s[30:31]
.LBB102_18:                             ;   in Loop: Header=BB102_9 Depth=1
	s_or_b64 exec, exec, s[28:29]
	v_cmp_gt_i64_e32 vcc, s[18:19], v[8:9]
	s_and_saveexec_b64 s[2:3], vcc
	s_cbranch_execz .LBB102_8
; %bb.19:                               ;   in Loop: Header=BB102_9 Depth=1
	s_mov_b64 s[4:5], -1
	s_and_b64 vcc, exec, s[8:9]
	s_cbranch_vccz .LBB102_25
; %bb.20:                               ;   in Loop: Header=BB102_9 Depth=1
	s_and_b64 vcc, exec, s[16:17]
	s_cbranch_vccz .LBB102_22
; %bb.21:                               ;   in Loop: Header=BB102_9 Depth=1
	v_lshlrev_b64 v[10:11], 2, v[8:9]
	v_add_co_u32_e32 v10, vcc, v23, v10
	v_addc_co_u32_e32 v11, vcc, v24, v11, vcc
	global_load_dword v12, v[10:11], off
	v_mul_f32_e32 v13, s24, v25
	s_mov_b64 s[4:5], 0
	s_waitcnt vmcnt(0)
	v_fmac_f32_e32 v13, s26, v12
	global_store_dword v[10:11], v13, off
.LBB102_22:                             ;   in Loop: Header=BB102_9 Depth=1
	s_andn2_b64 vcc, exec, s[4:5]
	s_cbranch_vccnz .LBB102_24
; %bb.23:                               ;   in Loop: Header=BB102_9 Depth=1
	v_mul_lo_u32 v12, v9, s22
	v_mul_lo_u32 v13, v8, s23
	v_mad_u64_u32 v[10:11], s[4:5], v8, s22, 0
	v_add3_u32 v11, v11, v13, v12
	v_lshlrev_b64 v[10:11], 2, v[10:11]
	v_add_co_u32_e32 v10, vcc, v21, v10
	v_addc_co_u32_e32 v11, vcc, v22, v11, vcc
	global_load_dword v12, v[10:11], off
	v_mul_f32_e32 v13, s24, v25
	s_waitcnt vmcnt(0)
	v_fmac_f32_e32 v13, s26, v12
	global_store_dword v[10:11], v13, off
.LBB102_24:                             ;   in Loop: Header=BB102_9 Depth=1
	s_mov_b64 s[4:5], 0
.LBB102_25:                             ;   in Loop: Header=BB102_9 Depth=1
	s_andn2_b64 vcc, exec, s[4:5]
	s_cbranch_vccnz .LBB102_8
; %bb.26:                               ;   in Loop: Header=BB102_9 Depth=1
	v_mul_f32_e32 v10, s24, v25
	s_mov_b64 s[4:5], -1
	s_and_b64 vcc, exec, s[16:17]
	s_cbranch_vccz .LBB102_28
; %bb.27:                               ;   in Loop: Header=BB102_9 Depth=1
	v_lshlrev_b64 v[12:13], 2, v[8:9]
	v_add_co_u32_e32 v12, vcc, v23, v12
	v_addc_co_u32_e32 v13, vcc, v24, v13, vcc
	global_store_dword v[12:13], v10, off
	s_mov_b64 s[4:5], 0
.LBB102_28:                             ;   in Loop: Header=BB102_9 Depth=1
	s_andn2_b64 vcc, exec, s[4:5]
	s_cbranch_vccnz .LBB102_8
; %bb.29:                               ;   in Loop: Header=BB102_9 Depth=1
	v_mul_lo_u32 v11, v9, s22
	v_mul_lo_u32 v12, v8, s23
	v_mad_u64_u32 v[8:9], s[4:5], v8, s22, 0
	v_add3_u32 v9, v9, v12, v11
	v_lshlrev_b64 v[8:9], 2, v[8:9]
	v_add_co_u32_e32 v8, vcc, v21, v8
	v_addc_co_u32_e32 v9, vcc, v22, v9, vcc
	global_store_dword v[8:9], v10, off
	s_branch .LBB102_8
.LBB102_30:
	s_endpgm
	.section	.rodata,"a",@progbits
	.p2align	6, 0x0
	.amdhsa_kernel _ZN9rocsparseL29bsrmmnt_small_blockdim_kernelILj64ELj16ELj2EllaaffEEv20rocsparse_direction_T3_S2_llNS_24const_host_device_scalarIT7_EEPKT2_PKS2_PKT4_PKT5_llS5_PT6_ll16rocsparse_order_21rocsparse_index_base_b
		.amdhsa_group_segment_fixed_size 704
		.amdhsa_private_segment_fixed_size 0
		.amdhsa_kernarg_size 400
		.amdhsa_user_sgpr_count 6
		.amdhsa_user_sgpr_private_segment_buffer 1
		.amdhsa_user_sgpr_dispatch_ptr 0
		.amdhsa_user_sgpr_queue_ptr 0
		.amdhsa_user_sgpr_kernarg_segment_ptr 1
		.amdhsa_user_sgpr_dispatch_id 0
		.amdhsa_user_sgpr_flat_scratch_init 0
		.amdhsa_user_sgpr_kernarg_preload_length 0
		.amdhsa_user_sgpr_kernarg_preload_offset 0
		.amdhsa_user_sgpr_private_segment_size 0
		.amdhsa_uses_dynamic_stack 0
		.amdhsa_system_sgpr_private_segment_wavefront_offset 0
		.amdhsa_system_sgpr_workgroup_id_x 1
		.amdhsa_system_sgpr_workgroup_id_y 0
		.amdhsa_system_sgpr_workgroup_id_z 0
		.amdhsa_system_sgpr_workgroup_info 0
		.amdhsa_system_vgpr_workitem_id 0
		.amdhsa_next_free_vgpr 35
		.amdhsa_next_free_sgpr 37
		.amdhsa_accum_offset 36
		.amdhsa_reserve_vcc 1
		.amdhsa_reserve_flat_scratch 0
		.amdhsa_float_round_mode_32 0
		.amdhsa_float_round_mode_16_64 0
		.amdhsa_float_denorm_mode_32 3
		.amdhsa_float_denorm_mode_16_64 3
		.amdhsa_dx10_clamp 1
		.amdhsa_ieee_mode 1
		.amdhsa_fp16_overflow 0
		.amdhsa_tg_split 0
		.amdhsa_exception_fp_ieee_invalid_op 0
		.amdhsa_exception_fp_denorm_src 0
		.amdhsa_exception_fp_ieee_div_zero 0
		.amdhsa_exception_fp_ieee_overflow 0
		.amdhsa_exception_fp_ieee_underflow 0
		.amdhsa_exception_fp_ieee_inexact 0
		.amdhsa_exception_int_div_zero 0
	.end_amdhsa_kernel
	.section	.text._ZN9rocsparseL29bsrmmnt_small_blockdim_kernelILj64ELj16ELj2EllaaffEEv20rocsparse_direction_T3_S2_llNS_24const_host_device_scalarIT7_EEPKT2_PKS2_PKT4_PKT5_llS5_PT6_ll16rocsparse_order_21rocsparse_index_base_b,"axG",@progbits,_ZN9rocsparseL29bsrmmnt_small_blockdim_kernelILj64ELj16ELj2EllaaffEEv20rocsparse_direction_T3_S2_llNS_24const_host_device_scalarIT7_EEPKT2_PKS2_PKT4_PKT5_llS5_PT6_ll16rocsparse_order_21rocsparse_index_base_b,comdat
.Lfunc_end102:
	.size	_ZN9rocsparseL29bsrmmnt_small_blockdim_kernelILj64ELj16ELj2EllaaffEEv20rocsparse_direction_T3_S2_llNS_24const_host_device_scalarIT7_EEPKT2_PKS2_PKT4_PKT5_llS5_PT6_ll16rocsparse_order_21rocsparse_index_base_b, .Lfunc_end102-_ZN9rocsparseL29bsrmmnt_small_blockdim_kernelILj64ELj16ELj2EllaaffEEv20rocsparse_direction_T3_S2_llNS_24const_host_device_scalarIT7_EEPKT2_PKS2_PKT4_PKT5_llS5_PT6_ll16rocsparse_order_21rocsparse_index_base_b
                                        ; -- End function
	.section	.AMDGPU.csdata,"",@progbits
; Kernel info:
; codeLenInByte = 1416
; NumSgprs: 41
; NumVgprs: 35
; NumAgprs: 0
; TotalNumVgprs: 35
; ScratchSize: 0
; MemoryBound: 0
; FloatMode: 240
; IeeeMode: 1
; LDSByteSize: 704 bytes/workgroup (compile time only)
; SGPRBlocks: 5
; VGPRBlocks: 4
; NumSGPRsForWavesPerEU: 41
; NumVGPRsForWavesPerEU: 35
; AccumOffset: 36
; Occupancy: 8
; WaveLimiterHint : 1
; COMPUTE_PGM_RSRC2:SCRATCH_EN: 0
; COMPUTE_PGM_RSRC2:USER_SGPR: 6
; COMPUTE_PGM_RSRC2:TRAP_HANDLER: 0
; COMPUTE_PGM_RSRC2:TGID_X_EN: 1
; COMPUTE_PGM_RSRC2:TGID_Y_EN: 0
; COMPUTE_PGM_RSRC2:TGID_Z_EN: 0
; COMPUTE_PGM_RSRC2:TIDIG_COMP_CNT: 0
; COMPUTE_PGM_RSRC3_GFX90A:ACCUM_OFFSET: 8
; COMPUTE_PGM_RSRC3_GFX90A:TG_SPLIT: 0
	.section	.text._ZN9rocsparseL29bsrmmnt_small_blockdim_kernelILj64ELj32ELj2EllaaffEEv20rocsparse_direction_T3_S2_llNS_24const_host_device_scalarIT7_EEPKT2_PKS2_PKT4_PKT5_llS5_PT6_ll16rocsparse_order_21rocsparse_index_base_b,"axG",@progbits,_ZN9rocsparseL29bsrmmnt_small_blockdim_kernelILj64ELj32ELj2EllaaffEEv20rocsparse_direction_T3_S2_llNS_24const_host_device_scalarIT7_EEPKT2_PKS2_PKT4_PKT5_llS5_PT6_ll16rocsparse_order_21rocsparse_index_base_b,comdat
	.globl	_ZN9rocsparseL29bsrmmnt_small_blockdim_kernelILj64ELj32ELj2EllaaffEEv20rocsparse_direction_T3_S2_llNS_24const_host_device_scalarIT7_EEPKT2_PKS2_PKT4_PKT5_llS5_PT6_ll16rocsparse_order_21rocsparse_index_base_b ; -- Begin function _ZN9rocsparseL29bsrmmnt_small_blockdim_kernelILj64ELj32ELj2EllaaffEEv20rocsparse_direction_T3_S2_llNS_24const_host_device_scalarIT7_EEPKT2_PKS2_PKT4_PKT5_llS5_PT6_ll16rocsparse_order_21rocsparse_index_base_b
	.p2align	8
	.type	_ZN9rocsparseL29bsrmmnt_small_blockdim_kernelILj64ELj32ELj2EllaaffEEv20rocsparse_direction_T3_S2_llNS_24const_host_device_scalarIT7_EEPKT2_PKS2_PKT4_PKT5_llS5_PT6_ll16rocsparse_order_21rocsparse_index_base_b,@function
_ZN9rocsparseL29bsrmmnt_small_blockdim_kernelILj64ELj32ELj2EllaaffEEv20rocsparse_direction_T3_S2_llNS_24const_host_device_scalarIT7_EEPKT2_PKS2_PKT4_PKT5_llS5_PT6_ll16rocsparse_order_21rocsparse_index_base_b: ; @_ZN9rocsparseL29bsrmmnt_small_blockdim_kernelILj64ELj32ELj2EllaaffEEv20rocsparse_direction_T3_S2_llNS_24const_host_device_scalarIT7_EEPKT2_PKS2_PKT4_PKT5_llS5_PT6_ll16rocsparse_order_21rocsparse_index_base_b
; %bb.0:
	s_load_dwordx4 s[0:3], s[4:5], 0x80
	s_load_dwordx2 s[24:25], s[4:5], 0x28
	s_load_dwordx2 s[26:27], s[4:5], 0x60
	s_waitcnt lgkmcnt(0)
	s_bitcmp1_b32 s2, 0
	s_cselect_b64 s[8:9], -1, 0
	s_xor_b64 s[2:3], s[8:9], -1
	s_and_b64 vcc, exec, s[8:9]
	s_cbranch_vccnz .LBB103_2
; %bb.1:
	s_load_dword s24, s[24:25], 0x0
.LBB103_2:
	s_andn2_b64 vcc, exec, s[2:3]
	s_cbranch_vccnz .LBB103_4
; %bb.3:
	s_load_dword s26, s[26:27], 0x0
.LBB103_4:
	s_waitcnt lgkmcnt(0)
	v_cmp_eq_f32_e64 s[2:3], s24, 0
	v_cmp_eq_f32_e64 s[8:9], s26, 1.0
	s_and_b64 s[2:3], s[2:3], s[8:9]
	s_and_b64 vcc, exec, s[2:3]
	s_cbranch_vccnz .LBB103_30
; %bb.5:
	s_load_dword s2, s[4:5], 0x9c
	s_load_dwordx4 s[16:19], s[4:5], 0x8
	v_mov_b32_e32 v3, 0
	s_waitcnt lgkmcnt(0)
	s_and_b32 s2, s2, 0xffff
	s_mul_i32 s6, s6, s2
	v_add_u32_e32 v1, s6, v0
	v_lshrrev_b32_e32 v2, 6, v1
	v_cmp_gt_i64_e32 vcc, s[16:17], v[2:3]
	s_and_saveexec_b64 s[2:3], vcc
	s_cbranch_execz .LBB103_30
; %bb.6:
	v_cmp_lt_i64_e64 s[2:3], s[18:19], 1
	s_and_b64 vcc, exec, s[2:3]
	s_cbranch_vccnz .LBB103_30
; %bb.7:
	s_load_dwordx8 s[8:15], s[4:5], 0x30
	v_lshlrev_b32_e32 v2, 3, v2
	v_lshrrev_b32_e32 v12, 5, v1
	s_cmp_lg_u32 s0, 1
	s_cselect_b64 s[16:17], -1, 0
	s_waitcnt lgkmcnt(0)
	global_load_dwordx4 v[8:11], v2, s[8:9]
	s_load_dword s2, s[4:5], 0x0
	s_load_dwordx4 s[20:23], s[4:5], 0x68
	s_load_dwordx2 s[6:7], s[4:5], 0x50
	v_and_b32_e32 v2, 31, v0
	v_lshrrev_b32_e32 v0, 5, v0
	s_waitcnt lgkmcnt(0)
	s_cmp_eq_u32 s2, 0
	v_mad_u64_u32 v[6:7], s[2:3], v12, s22, 0
	v_bfe_u32 v4, v1, 5, 1
	v_lshlrev_b32_e32 v3, 8, v0
	v_mul_u32_u24_e32 v0, 0x60, v0
	v_lshlrev_b32_e32 v1, 2, v12
	s_cselect_b64 s[2:3], -1, 0
	v_or_b32_e32 v19, 0x200, v0
	v_mov_b32_e32 v0, v7
	v_add_co_u32_e32 v21, vcc, s20, v1
	v_cndmask_b32_e64 v1, 0, 1, s[2:3]
	v_mad_u64_u32 v[12:13], s[4:5], v12, s23, v[0:1]
	v_mov_b32_e32 v5, 0
	v_mov_b32_e32 v14, s21
	;; [unrolled: 1-line block ×3, first 2 shown]
	v_addc_co_u32_e32 v22, vcc, 0, v14, vcc
	v_lshlrev_b64 v[0:1], v1, v[4:5]
	v_lshlrev_b64 v[4:5], 2, v[6:7]
	v_add_co_u32_e32 v23, vcc, s20, v4
	v_addc_co_u32_e32 v24, vcc, v14, v5, vcc
	s_and_b64 s[2:3], s[2:3], exec
	s_mov_b32 s25, 0
	s_mov_b32 s27, s1
	v_cmp_neq_f32_e64 s[8:9], s26, 0
	v_lshl_or_b32 v18, v2, 3, v3
	v_mad_u32_u24 v20, v2, 3, v19
	s_cselect_b32 s33, 1, 2
	s_mov_b64 s[20:21], 0
	s_waitcnt vmcnt(0)
	v_subrev_co_u32_e32 v4, vcc, s1, v8
	v_subbrev_co_u32_e32 v5, vcc, 0, v9, vcc
	v_subrev_co_u32_e32 v6, vcc, s1, v10
	v_subbrev_co_u32_e32 v7, vcc, 0, v11, vcc
	v_cmp_lt_i64_e64 s[0:1], v[8:9], v[10:11]
	s_branch .LBB103_9
.LBB103_8:                              ;   in Loop: Header=BB103_9 Depth=1
	s_or_b64 exec, exec, s[2:3]
	s_add_u32 s20, s20, 32
	s_addc_u32 s21, s21, 0
	v_pk_mov_b32 v[8:9], s[18:19], s[18:19] op_sel:[0,1]
	v_cmp_lt_i64_e32 vcc, s[20:21], v[8:9]
	s_cbranch_vccz .LBB103_30
.LBB103_9:                              ; =>This Loop Header: Depth=1
                                        ;     Child Loop BB103_12 Depth 2
                                        ;       Child Loop BB103_16 Depth 3
	v_or_b32_e64 v9, s21, 0
	v_or_b32_e32 v8, s20, v2
	v_mov_b32_e32 v25, 0
	s_and_saveexec_b64 s[28:29], s[0:1]
	s_cbranch_execz .LBB103_18
; %bb.10:                               ;   in Loop: Header=BB103_9 Depth=1
	v_mov_b32_e32 v11, s15
	v_add_co_u32_e64 v10, s[2:3], s14, v8
	v_cmp_gt_i64_e32 vcc, s[18:19], v[8:9]
	v_addc_co_u32_e64 v11, s[2:3], v11, v9, s[2:3]
	s_mov_b64 s[30:31], 0
	v_mov_b32_e32 v25, 0
	v_pk_mov_b32 v[12:13], v[4:5], v[4:5] op_sel:[0,1]
	s_branch .LBB103_12
.LBB103_11:                             ;   in Loop: Header=BB103_12 Depth=2
	s_or_b64 exec, exec, s[34:35]
	v_add_co_u32_e64 v12, s[2:3], 32, v12
	v_addc_co_u32_e64 v13, s[2:3], 0, v13, s[2:3]
	v_cmp_ge_i64_e64 s[2:3], v[12:13], v[6:7]
	s_or_b64 s[30:31], s[2:3], s[30:31]
	s_andn2_b64 exec, exec, s[30:31]
	s_cbranch_execz .LBB103_17
.LBB103_12:                             ;   Parent Loop BB103_9 Depth=1
                                        ; =>  This Loop Header: Depth=2
                                        ;       Child Loop BB103_16 Depth 3
	v_add_co_u32_e64 v14, s[2:3], v12, v2
	v_addc_co_u32_e64 v15, s[2:3], 0, v13, s[2:3]
	v_cmp_lt_i64_e64 s[2:3], v[14:15], v[6:7]
	v_pk_mov_b32 v[16:17], 0, 0
	v_mov_b32_e32 v26, 0
	v_mov_b32_e32 v27, 0
	s_and_saveexec_b64 s[4:5], s[2:3]
	s_cbranch_execz .LBB103_14
; %bb.13:                               ;   in Loop: Header=BB103_12 Depth=2
	v_lshlrev_b64 v[16:17], 3, v[14:15]
	v_lshlrev_b64 v[14:15], 2, v[14:15]
	v_mov_b32_e32 v26, s11
	v_add_co_u32_e64 v16, s[2:3], s10, v16
	v_or_b32_e32 v27, v14, v0
	v_addc_co_u32_e64 v17, s[2:3], v26, v17, s[2:3]
	v_or_b32_e32 v26, v15, v1
	v_or_b32_e32 v14, s33, v27
	v_mov_b32_e32 v30, s13
	v_or_b32_e32 v15, 0, v26
	v_add_co_u32_e64 v14, s[2:3], s12, v14
	v_addc_co_u32_e64 v15, s[2:3], v30, v15, s[2:3]
	global_load_sbyte v31, v[14:15], off
	global_load_dwordx2 v[28:29], v[16:17], off
	v_add_co_u32_e64 v14, s[2:3], s12, v27
	v_addc_co_u32_e64 v15, s[2:3], v30, v26, s[2:3]
	global_load_ubyte v26, v[14:15], off
	v_mov_b32_e32 v15, s25
	s_waitcnt vmcnt(2)
	v_cvt_f32_i32_e32 v27, v31
	s_waitcnt vmcnt(1)
	v_subrev_co_u32_e64 v14, s[2:3], s27, v28
	v_subb_co_u32_e64 v15, s[2:3], v29, v15, s[2:3]
	v_lshlrev_b64 v[16:17], 1, v[14:15]
.LBB103_14:                             ;   in Loop: Header=BB103_12 Depth=2
	s_or_b64 exec, exec, s[4:5]
	v_cvt_i32_f32_e32 v14, v27
	ds_write_b64 v18, v[16:17]
	s_waitcnt vmcnt(0)
	ds_write_b8 v20, v26
	ds_write_b8 v20, v14 offset:1
	s_waitcnt lgkmcnt(0)
	; wave barrier
	s_waitcnt lgkmcnt(0)
	s_and_saveexec_b64 s[34:35], vcc
	s_cbranch_execz .LBB103_11
; %bb.15:                               ;   in Loop: Header=BB103_12 Depth=2
	s_mov_b32 s36, 0
	v_mov_b32_e32 v14, v3
.LBB103_16:                             ;   Parent Loop BB103_9 Depth=1
                                        ;     Parent Loop BB103_12 Depth=2
                                        ; =>    This Inner Loop Header: Depth=3
	ds_read_b128 v[26:29], v14
	v_mov_b32_e32 v15, s7
	v_add_u32_e32 v14, 16, v14
	s_waitcnt lgkmcnt(0)
	v_mad_u64_u32 v[16:17], s[2:3], v26, s6, v[10:11]
	v_mul_lo_u32 v30, v26, s7
	v_mul_lo_u32 v31, v27, s6
	v_mad_u64_u32 v[26:27], s[2:3], v28, s6, v[10:11]
	v_mul_lo_u32 v28, v28, s7
	v_mul_lo_u32 v29, v29, s6
	v_add3_u32 v17, v31, v17, v30
	v_add3_u32 v27, v29, v27, v28
	v_add_co_u32_e64 v28, s[2:3], s6, v26
	v_add_co_u32_e64 v30, s[4:5], s6, v16
	v_addc_co_u32_e64 v31, s[4:5], v17, v15, s[4:5]
	v_addc_co_u32_e64 v29, s[2:3], v27, v15, s[2:3]
	global_load_sbyte v15, v[16:17], off
	global_load_sbyte v32, v[30:31], off
	;; [unrolled: 1-line block ×4, first 2 shown]
	v_add_u32_e32 v16, s36, v19
	ds_read_u16 v17, v16
	ds_read_i8 v26, v16 offset:3
	ds_read_i8 v16, v16 offset:4
	s_add_i32 s36, s36, 6
	s_cmpk_lg_i32 s36, 0x60
	s_waitcnt lgkmcnt(2)
	v_bfe_i32 v27, v17, 0, 8
	v_ashrrev_i16_e32 v17, 8, v17
	v_cvt_f32_i32_sdwa v27, sext(v27) dst_sel:DWORD dst_unused:UNUSED_PAD src0_sel:WORD_0
	v_cvt_f32_i32_sdwa v17, sext(v17) dst_sel:DWORD dst_unused:UNUSED_PAD src0_sel:WORD_0
	s_waitcnt lgkmcnt(1)
	v_cvt_f32_i32_e32 v26, v26
	s_waitcnt lgkmcnt(0)
	v_cvt_f32_i32_e32 v16, v16
	s_waitcnt vmcnt(3)
	v_cvt_f32_i32_e32 v15, v15
	s_waitcnt vmcnt(2)
	;; [unrolled: 2-line block ×4, first 2 shown]
	v_cvt_f32_i32_e32 v30, v34
	v_fmac_f32_e32 v25, v27, v15
	v_fmac_f32_e32 v25, v17, v28
	;; [unrolled: 1-line block ×4, first 2 shown]
	s_cbranch_scc1 .LBB103_16
	s_branch .LBB103_11
.LBB103_17:                             ;   in Loop: Header=BB103_9 Depth=1
	s_or_b64 exec, exec, s[30:31]
.LBB103_18:                             ;   in Loop: Header=BB103_9 Depth=1
	s_or_b64 exec, exec, s[28:29]
	v_cmp_gt_i64_e32 vcc, s[18:19], v[8:9]
	s_and_saveexec_b64 s[2:3], vcc
	s_cbranch_execz .LBB103_8
; %bb.19:                               ;   in Loop: Header=BB103_9 Depth=1
	s_mov_b64 s[4:5], -1
	s_and_b64 vcc, exec, s[8:9]
	s_cbranch_vccz .LBB103_25
; %bb.20:                               ;   in Loop: Header=BB103_9 Depth=1
	s_and_b64 vcc, exec, s[16:17]
	s_cbranch_vccz .LBB103_22
; %bb.21:                               ;   in Loop: Header=BB103_9 Depth=1
	v_lshlrev_b64 v[10:11], 2, v[8:9]
	v_add_co_u32_e32 v10, vcc, v23, v10
	v_addc_co_u32_e32 v11, vcc, v24, v11, vcc
	global_load_dword v12, v[10:11], off
	v_mul_f32_e32 v13, s24, v25
	s_mov_b64 s[4:5], 0
	s_waitcnt vmcnt(0)
	v_fmac_f32_e32 v13, s26, v12
	global_store_dword v[10:11], v13, off
.LBB103_22:                             ;   in Loop: Header=BB103_9 Depth=1
	s_andn2_b64 vcc, exec, s[4:5]
	s_cbranch_vccnz .LBB103_24
; %bb.23:                               ;   in Loop: Header=BB103_9 Depth=1
	v_mul_lo_u32 v12, v9, s22
	v_mul_lo_u32 v13, v8, s23
	v_mad_u64_u32 v[10:11], s[4:5], v8, s22, 0
	v_add3_u32 v11, v11, v13, v12
	v_lshlrev_b64 v[10:11], 2, v[10:11]
	v_add_co_u32_e32 v10, vcc, v21, v10
	v_addc_co_u32_e32 v11, vcc, v22, v11, vcc
	global_load_dword v12, v[10:11], off
	v_mul_f32_e32 v13, s24, v25
	s_waitcnt vmcnt(0)
	v_fmac_f32_e32 v13, s26, v12
	global_store_dword v[10:11], v13, off
.LBB103_24:                             ;   in Loop: Header=BB103_9 Depth=1
	s_mov_b64 s[4:5], 0
.LBB103_25:                             ;   in Loop: Header=BB103_9 Depth=1
	s_andn2_b64 vcc, exec, s[4:5]
	s_cbranch_vccnz .LBB103_8
; %bb.26:                               ;   in Loop: Header=BB103_9 Depth=1
	v_mul_f32_e32 v10, s24, v25
	s_mov_b64 s[4:5], -1
	s_and_b64 vcc, exec, s[16:17]
	s_cbranch_vccz .LBB103_28
; %bb.27:                               ;   in Loop: Header=BB103_9 Depth=1
	v_lshlrev_b64 v[12:13], 2, v[8:9]
	v_add_co_u32_e32 v12, vcc, v23, v12
	v_addc_co_u32_e32 v13, vcc, v24, v13, vcc
	global_store_dword v[12:13], v10, off
	s_mov_b64 s[4:5], 0
.LBB103_28:                             ;   in Loop: Header=BB103_9 Depth=1
	s_andn2_b64 vcc, exec, s[4:5]
	s_cbranch_vccnz .LBB103_8
; %bb.29:                               ;   in Loop: Header=BB103_9 Depth=1
	v_mul_lo_u32 v11, v9, s22
	v_mul_lo_u32 v12, v8, s23
	v_mad_u64_u32 v[8:9], s[4:5], v8, s22, 0
	v_add3_u32 v9, v9, v12, v11
	v_lshlrev_b64 v[8:9], 2, v[8:9]
	v_add_co_u32_e32 v8, vcc, v21, v8
	v_addc_co_u32_e32 v9, vcc, v22, v9, vcc
	global_store_dword v[8:9], v10, off
	s_branch .LBB103_8
.LBB103_30:
	s_endpgm
	.section	.rodata,"a",@progbits
	.p2align	6, 0x0
	.amdhsa_kernel _ZN9rocsparseL29bsrmmnt_small_blockdim_kernelILj64ELj32ELj2EllaaffEEv20rocsparse_direction_T3_S2_llNS_24const_host_device_scalarIT7_EEPKT2_PKS2_PKT4_PKT5_llS5_PT6_ll16rocsparse_order_21rocsparse_index_base_b
		.amdhsa_group_segment_fixed_size 704
		.amdhsa_private_segment_fixed_size 0
		.amdhsa_kernarg_size 400
		.amdhsa_user_sgpr_count 6
		.amdhsa_user_sgpr_private_segment_buffer 1
		.amdhsa_user_sgpr_dispatch_ptr 0
		.amdhsa_user_sgpr_queue_ptr 0
		.amdhsa_user_sgpr_kernarg_segment_ptr 1
		.amdhsa_user_sgpr_dispatch_id 0
		.amdhsa_user_sgpr_flat_scratch_init 0
		.amdhsa_user_sgpr_kernarg_preload_length 0
		.amdhsa_user_sgpr_kernarg_preload_offset 0
		.amdhsa_user_sgpr_private_segment_size 0
		.amdhsa_uses_dynamic_stack 0
		.amdhsa_system_sgpr_private_segment_wavefront_offset 0
		.amdhsa_system_sgpr_workgroup_id_x 1
		.amdhsa_system_sgpr_workgroup_id_y 0
		.amdhsa_system_sgpr_workgroup_id_z 0
		.amdhsa_system_sgpr_workgroup_info 0
		.amdhsa_system_vgpr_workitem_id 0
		.amdhsa_next_free_vgpr 35
		.amdhsa_next_free_sgpr 37
		.amdhsa_accum_offset 36
		.amdhsa_reserve_vcc 1
		.amdhsa_reserve_flat_scratch 0
		.amdhsa_float_round_mode_32 0
		.amdhsa_float_round_mode_16_64 0
		.amdhsa_float_denorm_mode_32 3
		.amdhsa_float_denorm_mode_16_64 3
		.amdhsa_dx10_clamp 1
		.amdhsa_ieee_mode 1
		.amdhsa_fp16_overflow 0
		.amdhsa_tg_split 0
		.amdhsa_exception_fp_ieee_invalid_op 0
		.amdhsa_exception_fp_denorm_src 0
		.amdhsa_exception_fp_ieee_div_zero 0
		.amdhsa_exception_fp_ieee_overflow 0
		.amdhsa_exception_fp_ieee_underflow 0
		.amdhsa_exception_fp_ieee_inexact 0
		.amdhsa_exception_int_div_zero 0
	.end_amdhsa_kernel
	.section	.text._ZN9rocsparseL29bsrmmnt_small_blockdim_kernelILj64ELj32ELj2EllaaffEEv20rocsparse_direction_T3_S2_llNS_24const_host_device_scalarIT7_EEPKT2_PKS2_PKT4_PKT5_llS5_PT6_ll16rocsparse_order_21rocsparse_index_base_b,"axG",@progbits,_ZN9rocsparseL29bsrmmnt_small_blockdim_kernelILj64ELj32ELj2EllaaffEEv20rocsparse_direction_T3_S2_llNS_24const_host_device_scalarIT7_EEPKT2_PKS2_PKT4_PKT5_llS5_PT6_ll16rocsparse_order_21rocsparse_index_base_b,comdat
.Lfunc_end103:
	.size	_ZN9rocsparseL29bsrmmnt_small_blockdim_kernelILj64ELj32ELj2EllaaffEEv20rocsparse_direction_T3_S2_llNS_24const_host_device_scalarIT7_EEPKT2_PKS2_PKT4_PKT5_llS5_PT6_ll16rocsparse_order_21rocsparse_index_base_b, .Lfunc_end103-_ZN9rocsparseL29bsrmmnt_small_blockdim_kernelILj64ELj32ELj2EllaaffEEv20rocsparse_direction_T3_S2_llNS_24const_host_device_scalarIT7_EEPKT2_PKS2_PKT4_PKT5_llS5_PT6_ll16rocsparse_order_21rocsparse_index_base_b
                                        ; -- End function
	.section	.AMDGPU.csdata,"",@progbits
; Kernel info:
; codeLenInByte = 1420
; NumSgprs: 41
; NumVgprs: 35
; NumAgprs: 0
; TotalNumVgprs: 35
; ScratchSize: 0
; MemoryBound: 0
; FloatMode: 240
; IeeeMode: 1
; LDSByteSize: 704 bytes/workgroup (compile time only)
; SGPRBlocks: 5
; VGPRBlocks: 4
; NumSGPRsForWavesPerEU: 41
; NumVGPRsForWavesPerEU: 35
; AccumOffset: 36
; Occupancy: 8
; WaveLimiterHint : 1
; COMPUTE_PGM_RSRC2:SCRATCH_EN: 0
; COMPUTE_PGM_RSRC2:USER_SGPR: 6
; COMPUTE_PGM_RSRC2:TRAP_HANDLER: 0
; COMPUTE_PGM_RSRC2:TGID_X_EN: 1
; COMPUTE_PGM_RSRC2:TGID_Y_EN: 0
; COMPUTE_PGM_RSRC2:TGID_Z_EN: 0
; COMPUTE_PGM_RSRC2:TIDIG_COMP_CNT: 0
; COMPUTE_PGM_RSRC3_GFX90A:ACCUM_OFFSET: 8
; COMPUTE_PGM_RSRC3_GFX90A:TG_SPLIT: 0
	.section	.text._ZN9rocsparseL29bsrmmnt_small_blockdim_kernelILj64ELj64ELj2EllaaffEEv20rocsparse_direction_T3_S2_llNS_24const_host_device_scalarIT7_EEPKT2_PKS2_PKT4_PKT5_llS5_PT6_ll16rocsparse_order_21rocsparse_index_base_b,"axG",@progbits,_ZN9rocsparseL29bsrmmnt_small_blockdim_kernelILj64ELj64ELj2EllaaffEEv20rocsparse_direction_T3_S2_llNS_24const_host_device_scalarIT7_EEPKT2_PKS2_PKT4_PKT5_llS5_PT6_ll16rocsparse_order_21rocsparse_index_base_b,comdat
	.globl	_ZN9rocsparseL29bsrmmnt_small_blockdim_kernelILj64ELj64ELj2EllaaffEEv20rocsparse_direction_T3_S2_llNS_24const_host_device_scalarIT7_EEPKT2_PKS2_PKT4_PKT5_llS5_PT6_ll16rocsparse_order_21rocsparse_index_base_b ; -- Begin function _ZN9rocsparseL29bsrmmnt_small_blockdim_kernelILj64ELj64ELj2EllaaffEEv20rocsparse_direction_T3_S2_llNS_24const_host_device_scalarIT7_EEPKT2_PKS2_PKT4_PKT5_llS5_PT6_ll16rocsparse_order_21rocsparse_index_base_b
	.p2align	8
	.type	_ZN9rocsparseL29bsrmmnt_small_blockdim_kernelILj64ELj64ELj2EllaaffEEv20rocsparse_direction_T3_S2_llNS_24const_host_device_scalarIT7_EEPKT2_PKS2_PKT4_PKT5_llS5_PT6_ll16rocsparse_order_21rocsparse_index_base_b,@function
_ZN9rocsparseL29bsrmmnt_small_blockdim_kernelILj64ELj64ELj2EllaaffEEv20rocsparse_direction_T3_S2_llNS_24const_host_device_scalarIT7_EEPKT2_PKS2_PKT4_PKT5_llS5_PT6_ll16rocsparse_order_21rocsparse_index_base_b: ; @_ZN9rocsparseL29bsrmmnt_small_blockdim_kernelILj64ELj64ELj2EllaaffEEv20rocsparse_direction_T3_S2_llNS_24const_host_device_scalarIT7_EEPKT2_PKS2_PKT4_PKT5_llS5_PT6_ll16rocsparse_order_21rocsparse_index_base_b
; %bb.0:
	s_load_dwordx4 s[0:3], s[4:5], 0x80
	s_load_dwordx2 s[24:25], s[4:5], 0x28
	s_load_dwordx2 s[26:27], s[4:5], 0x60
	s_waitcnt lgkmcnt(0)
	s_bitcmp1_b32 s2, 0
	s_cselect_b64 s[8:9], -1, 0
	s_xor_b64 s[2:3], s[8:9], -1
	s_and_b64 vcc, exec, s[8:9]
	s_cbranch_vccnz .LBB104_2
; %bb.1:
	s_load_dword s24, s[24:25], 0x0
.LBB104_2:
	s_andn2_b64 vcc, exec, s[2:3]
	s_cbranch_vccnz .LBB104_4
; %bb.3:
	s_load_dword s26, s[26:27], 0x0
.LBB104_4:
	s_waitcnt lgkmcnt(0)
	v_cmp_eq_f32_e64 s[2:3], s24, 0
	v_cmp_eq_f32_e64 s[8:9], s26, 1.0
	s_and_b64 s[2:3], s[2:3], s[8:9]
	s_and_b64 vcc, exec, s[2:3]
	s_cbranch_vccnz .LBB104_30
; %bb.5:
	s_load_dword s2, s[4:5], 0x9c
	s_load_dwordx4 s[16:19], s[4:5], 0x8
	v_mov_b32_e32 v3, 0
	s_waitcnt lgkmcnt(0)
	s_and_b32 s2, s2, 0xffff
	s_mul_i32 s6, s6, s2
	v_add_u32_e32 v1, s6, v0
	v_lshrrev_b32_e32 v2, 7, v1
	v_cmp_gt_i64_e32 vcc, s[16:17], v[2:3]
	s_and_saveexec_b64 s[2:3], vcc
	s_cbranch_execz .LBB104_30
; %bb.6:
	v_cmp_lt_i64_e64 s[2:3], s[18:19], 1
	s_and_b64 vcc, exec, s[2:3]
	s_cbranch_vccnz .LBB104_30
; %bb.7:
	s_load_dwordx8 s[8:15], s[4:5], 0x30
	v_lshlrev_b32_e32 v2, 3, v2
	v_lshrrev_b32_e32 v7, 6, v1
	s_cmp_lg_u32 s0, 1
	v_mul_u32_u24_e32 v4, 3, v0
	s_waitcnt lgkmcnt(0)
	global_load_dwordx4 v[8:11], v2, s[8:9]
	s_load_dword s2, s[4:5], 0x0
	s_load_dwordx4 s[20:23], s[4:5], 0x68
	s_load_dwordx2 s[6:7], s[4:5], 0x50
	s_cselect_b64 s[16:17], -1, 0
	v_or_b32_e32 v19, 0x200, v4
	s_waitcnt lgkmcnt(0)
	s_cmp_eq_u32 s2, 0
	v_mad_u64_u32 v[4:5], s[2:3], v7, s22, 0
	v_mov_b32_e32 v6, v5
	s_cselect_b64 s[2:3], -1, 0
	v_bfe_u32 v2, v1, 6, 1
	v_mov_b32_e32 v3, 0
	v_lshlrev_b32_e32 v12, 2, v7
	v_cndmask_b32_e64 v5, 0, 1, s[2:3]
	v_mad_u64_u32 v[6:7], s[4:5], v7, s23, v[6:7]
	v_mov_b32_e32 v13, s21
	v_add_co_u32_e32 v20, vcc, s20, v12
	v_lshlrev_b64 v[2:3], v5, v[2:3]
	v_mov_b32_e32 v5, v6
	v_addc_co_u32_e32 v21, vcc, 0, v13, vcc
	v_lshlrev_b64 v[4:5], 2, v[4:5]
	v_add_co_u32_e32 v22, vcc, s20, v4
	v_addc_co_u32_e32 v23, vcc, v13, v5, vcc
	s_and_b64 s[2:3], s[2:3], exec
	s_mov_b32 s25, 0
	s_mov_b32 s27, s1
	v_lshlrev_b32_e32 v1, 3, v0
	v_mov_b32_e32 v18, 0x200
	v_cmp_neq_f32_e64 s[8:9], s26, 0
	s_cselect_b32 s33, 1, 2
	s_mov_b64 s[20:21], 0
	s_waitcnt vmcnt(0)
	v_subrev_co_u32_e32 v4, vcc, s1, v8
	v_subbrev_co_u32_e32 v5, vcc, 0, v9, vcc
	v_subrev_co_u32_e32 v6, vcc, s1, v10
	v_subbrev_co_u32_e32 v7, vcc, 0, v11, vcc
	v_cmp_lt_i64_e64 s[0:1], v[8:9], v[10:11]
	s_branch .LBB104_9
.LBB104_8:                              ;   in Loop: Header=BB104_9 Depth=1
	s_or_b64 exec, exec, s[2:3]
	s_add_u32 s20, s20, 64
	s_addc_u32 s21, s21, 0
	v_pk_mov_b32 v[8:9], s[18:19], s[18:19] op_sel:[0,1]
	v_cmp_lt_i64_e32 vcc, s[20:21], v[8:9]
	s_cbranch_vccz .LBB104_30
.LBB104_9:                              ; =>This Loop Header: Depth=1
                                        ;     Child Loop BB104_12 Depth 2
                                        ;       Child Loop BB104_16 Depth 3
	v_or_b32_e64 v9, s21, 0
	v_or_b32_e32 v8, s20, v0
	v_mov_b32_e32 v24, 0
	s_and_saveexec_b64 s[28:29], s[0:1]
	s_cbranch_execz .LBB104_18
; %bb.10:                               ;   in Loop: Header=BB104_9 Depth=1
	v_mov_b32_e32 v11, s15
	v_add_co_u32_e64 v10, s[2:3], s14, v8
	v_cmp_gt_i64_e32 vcc, s[18:19], v[8:9]
	v_addc_co_u32_e64 v11, s[2:3], v11, v9, s[2:3]
	s_mov_b64 s[30:31], 0
	v_mov_b32_e32 v24, 0
	v_pk_mov_b32 v[12:13], v[4:5], v[4:5] op_sel:[0,1]
	s_branch .LBB104_12
.LBB104_11:                             ;   in Loop: Header=BB104_12 Depth=2
	s_or_b64 exec, exec, s[34:35]
	v_add_co_u32_e64 v12, s[2:3], 64, v12
	v_addc_co_u32_e64 v13, s[2:3], 0, v13, s[2:3]
	v_cmp_ge_i64_e64 s[2:3], v[12:13], v[6:7]
	s_or_b64 s[30:31], s[2:3], s[30:31]
	s_andn2_b64 exec, exec, s[30:31]
	s_cbranch_execz .LBB104_17
.LBB104_12:                             ;   Parent Loop BB104_9 Depth=1
                                        ; =>  This Loop Header: Depth=2
                                        ;       Child Loop BB104_16 Depth 3
	v_add_co_u32_e64 v14, s[2:3], v12, v0
	v_addc_co_u32_e64 v15, s[2:3], 0, v13, s[2:3]
	v_cmp_lt_i64_e64 s[2:3], v[14:15], v[6:7]
	v_pk_mov_b32 v[16:17], 0, 0
	v_mov_b32_e32 v25, 0
	v_mov_b32_e32 v26, 0
	s_and_saveexec_b64 s[4:5], s[2:3]
	s_cbranch_execz .LBB104_14
; %bb.13:                               ;   in Loop: Header=BB104_12 Depth=2
	v_lshlrev_b64 v[16:17], 3, v[14:15]
	v_lshlrev_b64 v[14:15], 2, v[14:15]
	v_mov_b32_e32 v25, s11
	v_add_co_u32_e64 v16, s[2:3], s10, v16
	v_or_b32_e32 v26, v14, v2
	v_addc_co_u32_e64 v17, s[2:3], v25, v17, s[2:3]
	v_or_b32_e32 v25, v15, v3
	v_or_b32_e32 v14, s33, v26
	v_mov_b32_e32 v27, s13
	v_or_b32_e32 v15, 0, v25
	v_add_co_u32_e64 v14, s[2:3], s12, v14
	v_addc_co_u32_e64 v15, s[2:3], v27, v15, s[2:3]
	global_load_sbyte v30, v[14:15], off
	global_load_dwordx2 v[28:29], v[16:17], off
	v_add_co_u32_e64 v14, s[2:3], s12, v26
	v_addc_co_u32_e64 v15, s[2:3], v27, v25, s[2:3]
	global_load_ubyte v25, v[14:15], off
	v_mov_b32_e32 v15, s25
	s_waitcnt vmcnt(2)
	v_cvt_f32_i32_e32 v26, v30
	s_waitcnt vmcnt(1)
	v_subrev_co_u32_e64 v14, s[2:3], s27, v28
	v_subb_co_u32_e64 v15, s[2:3], v29, v15, s[2:3]
	v_lshlrev_b64 v[16:17], 1, v[14:15]
.LBB104_14:                             ;   in Loop: Header=BB104_12 Depth=2
	s_or_b64 exec, exec, s[4:5]
	v_cvt_i32_f32_e32 v14, v26
	ds_write_b64 v1, v[16:17]
	s_waitcnt vmcnt(0)
	ds_write_b8 v19, v25
	ds_write_b8 v19, v14 offset:1
	s_waitcnt lgkmcnt(0)
	; wave barrier
	s_waitcnt lgkmcnt(0)
	s_and_saveexec_b64 s[34:35], vcc
	s_cbranch_execz .LBB104_11
; %bb.15:                               ;   in Loop: Header=BB104_12 Depth=2
	s_mov_b32 s36, 0
	v_mov_b32_e32 v14, 0
.LBB104_16:                             ;   Parent Loop BB104_9 Depth=1
                                        ;     Parent Loop BB104_12 Depth=2
                                        ; =>    This Inner Loop Header: Depth=3
	ds_read_b128 v[26:29], v14
	v_mov_b32_e32 v15, s7
	v_add_u32_e32 v14, 16, v14
	s_waitcnt lgkmcnt(0)
	v_mad_u64_u32 v[16:17], s[2:3], v26, s6, v[10:11]
	v_mul_lo_u32 v25, v26, s7
	v_mul_lo_u32 v30, v27, s6
	v_mad_u64_u32 v[26:27], s[2:3], v28, s6, v[10:11]
	v_mul_lo_u32 v28, v28, s7
	v_mul_lo_u32 v29, v29, s6
	v_add3_u32 v17, v30, v17, v25
	v_add3_u32 v27, v29, v27, v28
	v_add_co_u32_e64 v28, s[2:3], s6, v26
	v_add_co_u32_e64 v30, s[4:5], s6, v16
	v_addc_co_u32_e64 v31, s[4:5], v17, v15, s[4:5]
	v_addc_co_u32_e64 v29, s[2:3], v27, v15, s[2:3]
	global_load_sbyte v15, v[16:17], off
	global_load_sbyte v25, v[30:31], off
	;; [unrolled: 1-line block ×4, first 2 shown]
	v_add_u32_e32 v16, s36, v18
	ds_read_u16 v17, v16
	ds_read_i8 v26, v16 offset:3
	ds_read_i8 v16, v16 offset:4
	s_add_i32 s36, s36, 6
	s_cmpk_lg_i32 s36, 0xc0
	s_waitcnt lgkmcnt(2)
	v_bfe_i32 v27, v17, 0, 8
	v_ashrrev_i16_e32 v17, 8, v17
	v_cvt_f32_i32_sdwa v27, sext(v27) dst_sel:DWORD dst_unused:UNUSED_PAD src0_sel:WORD_0
	v_cvt_f32_i32_sdwa v17, sext(v17) dst_sel:DWORD dst_unused:UNUSED_PAD src0_sel:WORD_0
	s_waitcnt lgkmcnt(1)
	v_cvt_f32_i32_e32 v26, v26
	s_waitcnt lgkmcnt(0)
	v_cvt_f32_i32_e32 v16, v16
	s_waitcnt vmcnt(3)
	v_cvt_f32_i32_e32 v15, v15
	s_waitcnt vmcnt(2)
	;; [unrolled: 2-line block ×4, first 2 shown]
	v_cvt_f32_i32_e32 v29, v33
	v_fmac_f32_e32 v24, v27, v15
	v_fmac_f32_e32 v24, v17, v25
	v_fmac_f32_e32 v24, v26, v28
	v_fmac_f32_e32 v24, v16, v29
	s_cbranch_scc1 .LBB104_16
	s_branch .LBB104_11
.LBB104_17:                             ;   in Loop: Header=BB104_9 Depth=1
	s_or_b64 exec, exec, s[30:31]
.LBB104_18:                             ;   in Loop: Header=BB104_9 Depth=1
	s_or_b64 exec, exec, s[28:29]
	v_cmp_gt_i64_e32 vcc, s[18:19], v[8:9]
	s_and_saveexec_b64 s[2:3], vcc
	s_cbranch_execz .LBB104_8
; %bb.19:                               ;   in Loop: Header=BB104_9 Depth=1
	s_mov_b64 s[4:5], -1
	s_and_b64 vcc, exec, s[8:9]
	s_cbranch_vccz .LBB104_25
; %bb.20:                               ;   in Loop: Header=BB104_9 Depth=1
	s_and_b64 vcc, exec, s[16:17]
	s_cbranch_vccz .LBB104_22
; %bb.21:                               ;   in Loop: Header=BB104_9 Depth=1
	v_lshlrev_b64 v[10:11], 2, v[8:9]
	v_add_co_u32_e32 v10, vcc, v22, v10
	v_addc_co_u32_e32 v11, vcc, v23, v11, vcc
	global_load_dword v12, v[10:11], off
	v_mul_f32_e32 v13, s24, v24
	s_mov_b64 s[4:5], 0
	s_waitcnt vmcnt(0)
	v_fmac_f32_e32 v13, s26, v12
	global_store_dword v[10:11], v13, off
.LBB104_22:                             ;   in Loop: Header=BB104_9 Depth=1
	s_andn2_b64 vcc, exec, s[4:5]
	s_cbranch_vccnz .LBB104_24
; %bb.23:                               ;   in Loop: Header=BB104_9 Depth=1
	v_mul_lo_u32 v12, v9, s22
	v_mul_lo_u32 v13, v8, s23
	v_mad_u64_u32 v[10:11], s[4:5], v8, s22, 0
	v_add3_u32 v11, v11, v13, v12
	v_lshlrev_b64 v[10:11], 2, v[10:11]
	v_add_co_u32_e32 v10, vcc, v20, v10
	v_addc_co_u32_e32 v11, vcc, v21, v11, vcc
	global_load_dword v12, v[10:11], off
	v_mul_f32_e32 v13, s24, v24
	s_waitcnt vmcnt(0)
	v_fmac_f32_e32 v13, s26, v12
	global_store_dword v[10:11], v13, off
.LBB104_24:                             ;   in Loop: Header=BB104_9 Depth=1
	s_mov_b64 s[4:5], 0
.LBB104_25:                             ;   in Loop: Header=BB104_9 Depth=1
	s_andn2_b64 vcc, exec, s[4:5]
	s_cbranch_vccnz .LBB104_8
; %bb.26:                               ;   in Loop: Header=BB104_9 Depth=1
	v_mul_f32_e32 v10, s24, v24
	s_mov_b64 s[4:5], -1
	s_and_b64 vcc, exec, s[16:17]
	s_cbranch_vccz .LBB104_28
; %bb.27:                               ;   in Loop: Header=BB104_9 Depth=1
	v_lshlrev_b64 v[12:13], 2, v[8:9]
	v_add_co_u32_e32 v12, vcc, v22, v12
	v_addc_co_u32_e32 v13, vcc, v23, v13, vcc
	global_store_dword v[12:13], v10, off
	s_mov_b64 s[4:5], 0
.LBB104_28:                             ;   in Loop: Header=BB104_9 Depth=1
	s_andn2_b64 vcc, exec, s[4:5]
	s_cbranch_vccnz .LBB104_8
; %bb.29:                               ;   in Loop: Header=BB104_9 Depth=1
	v_mul_lo_u32 v11, v9, s22
	v_mul_lo_u32 v12, v8, s23
	v_mad_u64_u32 v[8:9], s[4:5], v8, s22, 0
	v_add3_u32 v9, v9, v12, v11
	v_lshlrev_b64 v[8:9], 2, v[8:9]
	v_add_co_u32_e32 v8, vcc, v20, v8
	v_addc_co_u32_e32 v9, vcc, v21, v9, vcc
	global_store_dword v[8:9], v10, off
	s_branch .LBB104_8
.LBB104_30:
	s_endpgm
	.section	.rodata,"a",@progbits
	.p2align	6, 0x0
	.amdhsa_kernel _ZN9rocsparseL29bsrmmnt_small_blockdim_kernelILj64ELj64ELj2EllaaffEEv20rocsparse_direction_T3_S2_llNS_24const_host_device_scalarIT7_EEPKT2_PKS2_PKT4_PKT5_llS5_PT6_ll16rocsparse_order_21rocsparse_index_base_b
		.amdhsa_group_segment_fixed_size 704
		.amdhsa_private_segment_fixed_size 0
		.amdhsa_kernarg_size 400
		.amdhsa_user_sgpr_count 6
		.amdhsa_user_sgpr_private_segment_buffer 1
		.amdhsa_user_sgpr_dispatch_ptr 0
		.amdhsa_user_sgpr_queue_ptr 0
		.amdhsa_user_sgpr_kernarg_segment_ptr 1
		.amdhsa_user_sgpr_dispatch_id 0
		.amdhsa_user_sgpr_flat_scratch_init 0
		.amdhsa_user_sgpr_kernarg_preload_length 0
		.amdhsa_user_sgpr_kernarg_preload_offset 0
		.amdhsa_user_sgpr_private_segment_size 0
		.amdhsa_uses_dynamic_stack 0
		.amdhsa_system_sgpr_private_segment_wavefront_offset 0
		.amdhsa_system_sgpr_workgroup_id_x 1
		.amdhsa_system_sgpr_workgroup_id_y 0
		.amdhsa_system_sgpr_workgroup_id_z 0
		.amdhsa_system_sgpr_workgroup_info 0
		.amdhsa_system_vgpr_workitem_id 0
		.amdhsa_next_free_vgpr 34
		.amdhsa_next_free_sgpr 37
		.amdhsa_accum_offset 36
		.amdhsa_reserve_vcc 1
		.amdhsa_reserve_flat_scratch 0
		.amdhsa_float_round_mode_32 0
		.amdhsa_float_round_mode_16_64 0
		.amdhsa_float_denorm_mode_32 3
		.amdhsa_float_denorm_mode_16_64 3
		.amdhsa_dx10_clamp 1
		.amdhsa_ieee_mode 1
		.amdhsa_fp16_overflow 0
		.amdhsa_tg_split 0
		.amdhsa_exception_fp_ieee_invalid_op 0
		.amdhsa_exception_fp_denorm_src 0
		.amdhsa_exception_fp_ieee_div_zero 0
		.amdhsa_exception_fp_ieee_overflow 0
		.amdhsa_exception_fp_ieee_underflow 0
		.amdhsa_exception_fp_ieee_inexact 0
		.amdhsa_exception_int_div_zero 0
	.end_amdhsa_kernel
	.section	.text._ZN9rocsparseL29bsrmmnt_small_blockdim_kernelILj64ELj64ELj2EllaaffEEv20rocsparse_direction_T3_S2_llNS_24const_host_device_scalarIT7_EEPKT2_PKS2_PKT4_PKT5_llS5_PT6_ll16rocsparse_order_21rocsparse_index_base_b,"axG",@progbits,_ZN9rocsparseL29bsrmmnt_small_blockdim_kernelILj64ELj64ELj2EllaaffEEv20rocsparse_direction_T3_S2_llNS_24const_host_device_scalarIT7_EEPKT2_PKS2_PKT4_PKT5_llS5_PT6_ll16rocsparse_order_21rocsparse_index_base_b,comdat
.Lfunc_end104:
	.size	_ZN9rocsparseL29bsrmmnt_small_blockdim_kernelILj64ELj64ELj2EllaaffEEv20rocsparse_direction_T3_S2_llNS_24const_host_device_scalarIT7_EEPKT2_PKS2_PKT4_PKT5_llS5_PT6_ll16rocsparse_order_21rocsparse_index_base_b, .Lfunc_end104-_ZN9rocsparseL29bsrmmnt_small_blockdim_kernelILj64ELj64ELj2EllaaffEEv20rocsparse_direction_T3_S2_llNS_24const_host_device_scalarIT7_EEPKT2_PKS2_PKT4_PKT5_llS5_PT6_ll16rocsparse_order_21rocsparse_index_base_b
                                        ; -- End function
	.section	.AMDGPU.csdata,"",@progbits
; Kernel info:
; codeLenInByte = 1400
; NumSgprs: 41
; NumVgprs: 34
; NumAgprs: 0
; TotalNumVgprs: 34
; ScratchSize: 0
; MemoryBound: 0
; FloatMode: 240
; IeeeMode: 1
; LDSByteSize: 704 bytes/workgroup (compile time only)
; SGPRBlocks: 5
; VGPRBlocks: 4
; NumSGPRsForWavesPerEU: 41
; NumVGPRsForWavesPerEU: 34
; AccumOffset: 36
; Occupancy: 8
; WaveLimiterHint : 1
; COMPUTE_PGM_RSRC2:SCRATCH_EN: 0
; COMPUTE_PGM_RSRC2:USER_SGPR: 6
; COMPUTE_PGM_RSRC2:TRAP_HANDLER: 0
; COMPUTE_PGM_RSRC2:TGID_X_EN: 1
; COMPUTE_PGM_RSRC2:TGID_Y_EN: 0
; COMPUTE_PGM_RSRC2:TGID_Z_EN: 0
; COMPUTE_PGM_RSRC2:TIDIG_COMP_CNT: 0
; COMPUTE_PGM_RSRC3_GFX90A:ACCUM_OFFSET: 8
; COMPUTE_PGM_RSRC3_GFX90A:TG_SPLIT: 0
	.text
	.p2alignl 6, 3212836864
	.fill 256, 4, 3212836864
	.type	__hip_cuid_369cfb6a4742fad,@object ; @__hip_cuid_369cfb6a4742fad
	.section	.bss,"aw",@nobits
	.globl	__hip_cuid_369cfb6a4742fad
__hip_cuid_369cfb6a4742fad:
	.byte	0                               ; 0x0
	.size	__hip_cuid_369cfb6a4742fad, 1

	.ident	"AMD clang version 19.0.0git (https://github.com/RadeonOpenCompute/llvm-project roc-6.4.0 25133 c7fe45cf4b819c5991fe208aaa96edf142730f1d)"
	.section	".note.GNU-stack","",@progbits
	.addrsig
	.addrsig_sym __hip_cuid_369cfb6a4742fad
	.amdgpu_metadata
---
amdhsa.kernels:
  - .agpr_count:     0
    .args:
      - .offset:         0
        .size:           4
        .value_kind:     by_value
      - .offset:         4
        .size:           4
        .value_kind:     by_value
      - .offset:         8
        .size:           4
        .value_kind:     by_value
      - .offset:         16
        .size:           8
        .value_kind:     by_value
      - .offset:         24
        .size:           8
        .value_kind:     by_value
      - .offset:         32
        .size:           8
        .value_kind:     by_value
      - .actual_access:  read_only
        .address_space:  global
        .offset:         40
        .size:           8
        .value_kind:     global_buffer
      - .actual_access:  read_only
        .address_space:  global
        .offset:         48
        .size:           8
        .value_kind:     global_buffer
      - .actual_access:  read_only
        .address_space:  global
        .offset:         56
        .size:           8
        .value_kind:     global_buffer
      - .actual_access:  read_only
        .address_space:  global
        .offset:         64
        .size:           8
        .value_kind:     global_buffer
      - .offset:         72
        .size:           8
        .value_kind:     by_value
      - .offset:         80
        .size:           8
        .value_kind:     by_value
      - .offset:         88
        .size:           8
        .value_kind:     by_value
      - .address_space:  global
        .offset:         96
        .size:           8
        .value_kind:     global_buffer
      - .offset:         104
        .size:           8
        .value_kind:     by_value
      - .offset:         112
        .size:           8
        .value_kind:     by_value
      - .offset:         120
        .size:           4
        .value_kind:     by_value
      - .offset:         124
        .size:           4
        .value_kind:     by_value
      - .offset:         128
        .size:           1
        .value_kind:     by_value
      - .offset:         136
        .size:           4
        .value_kind:     hidden_block_count_x
      - .offset:         140
        .size:           4
        .value_kind:     hidden_block_count_y
      - .offset:         144
        .size:           4
        .value_kind:     hidden_block_count_z
      - .offset:         148
        .size:           2
        .value_kind:     hidden_group_size_x
      - .offset:         150
        .size:           2
        .value_kind:     hidden_group_size_y
      - .offset:         152
        .size:           2
        .value_kind:     hidden_group_size_z
      - .offset:         154
        .size:           2
        .value_kind:     hidden_remainder_x
      - .offset:         156
        .size:           2
        .value_kind:     hidden_remainder_y
      - .offset:         158
        .size:           2
        .value_kind:     hidden_remainder_z
      - .offset:         176
        .size:           8
        .value_kind:     hidden_global_offset_x
      - .offset:         184
        .size:           8
        .value_kind:     hidden_global_offset_y
      - .offset:         192
        .size:           8
        .value_kind:     hidden_global_offset_z
      - .offset:         200
        .size:           2
        .value_kind:     hidden_grid_dims
    .group_segment_fixed_size: 1024
    .kernarg_segment_align: 8
    .kernarg_segment_size: 392
    .language:       OpenCL C
    .language_version:
      - 2
      - 0
    .max_flat_workgroup_size: 64
    .name:           _ZN9rocsparseL29bsrmmnn_small_blockdim_kernelILj64ELj8ELj2EiiffffEEv20rocsparse_direction_T3_S2_llNS_24const_host_device_scalarIT7_EEPKT2_PKS2_PKT4_PKT5_llS5_PT6_ll16rocsparse_order_21rocsparse_index_base_b
    .private_segment_fixed_size: 0
    .sgpr_count:     34
    .sgpr_spill_count: 0
    .symbol:         _ZN9rocsparseL29bsrmmnn_small_blockdim_kernelILj64ELj8ELj2EiiffffEEv20rocsparse_direction_T3_S2_llNS_24const_host_device_scalarIT7_EEPKT2_PKS2_PKT4_PKT5_llS5_PT6_ll16rocsparse_order_21rocsparse_index_base_b.kd
    .uniform_work_group_size: 1
    .uses_dynamic_stack: false
    .vgpr_count:     50
    .vgpr_spill_count: 0
    .wavefront_size: 64
  - .agpr_count:     0
    .args:
      - .offset:         0
        .size:           4
        .value_kind:     by_value
      - .offset:         4
        .size:           4
        .value_kind:     by_value
      - .offset:         8
        .size:           4
        .value_kind:     by_value
      - .offset:         16
        .size:           8
        .value_kind:     by_value
      - .offset:         24
        .size:           8
        .value_kind:     by_value
      - .offset:         32
        .size:           8
        .value_kind:     by_value
      - .actual_access:  read_only
        .address_space:  global
        .offset:         40
        .size:           8
        .value_kind:     global_buffer
      - .actual_access:  read_only
        .address_space:  global
        .offset:         48
        .size:           8
        .value_kind:     global_buffer
      - .actual_access:  read_only
        .address_space:  global
        .offset:         56
        .size:           8
        .value_kind:     global_buffer
      - .actual_access:  read_only
        .address_space:  global
        .offset:         64
        .size:           8
        .value_kind:     global_buffer
      - .offset:         72
        .size:           8
        .value_kind:     by_value
      - .offset:         80
        .size:           8
        .value_kind:     by_value
      - .offset:         88
        .size:           8
        .value_kind:     by_value
      - .address_space:  global
        .offset:         96
        .size:           8
        .value_kind:     global_buffer
      - .offset:         104
        .size:           8
        .value_kind:     by_value
      - .offset:         112
        .size:           8
        .value_kind:     by_value
      - .offset:         120
        .size:           4
        .value_kind:     by_value
      - .offset:         124
        .size:           4
        .value_kind:     by_value
      - .offset:         128
        .size:           1
        .value_kind:     by_value
      - .offset:         136
        .size:           4
        .value_kind:     hidden_block_count_x
      - .offset:         140
        .size:           4
        .value_kind:     hidden_block_count_y
      - .offset:         144
        .size:           4
        .value_kind:     hidden_block_count_z
      - .offset:         148
        .size:           2
        .value_kind:     hidden_group_size_x
      - .offset:         150
        .size:           2
        .value_kind:     hidden_group_size_y
      - .offset:         152
        .size:           2
        .value_kind:     hidden_group_size_z
      - .offset:         154
        .size:           2
        .value_kind:     hidden_remainder_x
      - .offset:         156
        .size:           2
        .value_kind:     hidden_remainder_y
      - .offset:         158
        .size:           2
        .value_kind:     hidden_remainder_z
      - .offset:         176
        .size:           8
        .value_kind:     hidden_global_offset_x
      - .offset:         184
        .size:           8
        .value_kind:     hidden_global_offset_y
      - .offset:         192
        .size:           8
        .value_kind:     hidden_global_offset_z
      - .offset:         200
        .size:           2
        .value_kind:     hidden_grid_dims
    .group_segment_fixed_size: 1024
    .kernarg_segment_align: 8
    .kernarg_segment_size: 392
    .language:       OpenCL C
    .language_version:
      - 2
      - 0
    .max_flat_workgroup_size: 64
    .name:           _ZN9rocsparseL29bsrmmnn_small_blockdim_kernelILj64ELj8ELj2EliffffEEv20rocsparse_direction_T3_S2_llNS_24const_host_device_scalarIT7_EEPKT2_PKS2_PKT4_PKT5_llS5_PT6_ll16rocsparse_order_21rocsparse_index_base_b
    .private_segment_fixed_size: 0
    .sgpr_count:     36
    .sgpr_spill_count: 0
    .symbol:         _ZN9rocsparseL29bsrmmnn_small_blockdim_kernelILj64ELj8ELj2EliffffEEv20rocsparse_direction_T3_S2_llNS_24const_host_device_scalarIT7_EEPKT2_PKS2_PKT4_PKT5_llS5_PT6_ll16rocsparse_order_21rocsparse_index_base_b.kd
    .uniform_work_group_size: 1
    .uses_dynamic_stack: false
    .vgpr_count:     60
    .vgpr_spill_count: 0
    .wavefront_size: 64
  - .agpr_count:     0
    .args:
      - .offset:         0
        .size:           4
        .value_kind:     by_value
      - .offset:         8
        .size:           8
        .value_kind:     by_value
      - .offset:         16
        .size:           8
        .value_kind:     by_value
      - .offset:         24
        .size:           8
        .value_kind:     by_value
      - .offset:         32
        .size:           8
        .value_kind:     by_value
      - .offset:         40
        .size:           8
        .value_kind:     by_value
      - .actual_access:  read_only
        .address_space:  global
        .offset:         48
        .size:           8
        .value_kind:     global_buffer
      - .actual_access:  read_only
        .address_space:  global
        .offset:         56
        .size:           8
        .value_kind:     global_buffer
      - .actual_access:  read_only
        .address_space:  global
        .offset:         64
        .size:           8
        .value_kind:     global_buffer
      - .actual_access:  read_only
        .address_space:  global
        .offset:         72
        .size:           8
        .value_kind:     global_buffer
      - .offset:         80
        .size:           8
        .value_kind:     by_value
      - .offset:         88
        .size:           8
        .value_kind:     by_value
      - .offset:         96
        .size:           8
        .value_kind:     by_value
      - .address_space:  global
        .offset:         104
        .size:           8
        .value_kind:     global_buffer
      - .offset:         112
        .size:           8
        .value_kind:     by_value
      - .offset:         120
        .size:           8
        .value_kind:     by_value
      - .offset:         128
        .size:           4
        .value_kind:     by_value
      - .offset:         132
        .size:           4
        .value_kind:     by_value
      - .offset:         136
        .size:           1
        .value_kind:     by_value
      - .offset:         144
        .size:           4
        .value_kind:     hidden_block_count_x
      - .offset:         148
        .size:           4
        .value_kind:     hidden_block_count_y
      - .offset:         152
        .size:           4
        .value_kind:     hidden_block_count_z
      - .offset:         156
        .size:           2
        .value_kind:     hidden_group_size_x
      - .offset:         158
        .size:           2
        .value_kind:     hidden_group_size_y
      - .offset:         160
        .size:           2
        .value_kind:     hidden_group_size_z
      - .offset:         162
        .size:           2
        .value_kind:     hidden_remainder_x
      - .offset:         164
        .size:           2
        .value_kind:     hidden_remainder_y
      - .offset:         166
        .size:           2
        .value_kind:     hidden_remainder_z
      - .offset:         184
        .size:           8
        .value_kind:     hidden_global_offset_x
      - .offset:         192
        .size:           8
        .value_kind:     hidden_global_offset_y
      - .offset:         200
        .size:           8
        .value_kind:     hidden_global_offset_z
      - .offset:         208
        .size:           2
        .value_kind:     hidden_grid_dims
    .group_segment_fixed_size: 1280
    .kernarg_segment_align: 8
    .kernarg_segment_size: 400
    .language:       OpenCL C
    .language_version:
      - 2
      - 0
    .max_flat_workgroup_size: 64
    .name:           _ZN9rocsparseL29bsrmmnn_small_blockdim_kernelILj64ELj8ELj2EllffffEEv20rocsparse_direction_T3_S2_llNS_24const_host_device_scalarIT7_EEPKT2_PKS2_PKT4_PKT5_llS5_PT6_ll16rocsparse_order_21rocsparse_index_base_b
    .private_segment_fixed_size: 0
    .sgpr_count:     36
    .sgpr_spill_count: 0
    .symbol:         _ZN9rocsparseL29bsrmmnn_small_blockdim_kernelILj64ELj8ELj2EllffffEEv20rocsparse_direction_T3_S2_llNS_24const_host_device_scalarIT7_EEPKT2_PKS2_PKT4_PKT5_llS5_PT6_ll16rocsparse_order_21rocsparse_index_base_b.kd
    .uniform_work_group_size: 1
    .uses_dynamic_stack: false
    .vgpr_count:     60
    .vgpr_spill_count: 0
    .wavefront_size: 64
  - .agpr_count:     0
    .args:
      - .offset:         0
        .size:           4
        .value_kind:     by_value
      - .offset:         4
        .size:           4
        .value_kind:     by_value
      - .offset:         8
        .size:           4
        .value_kind:     by_value
      - .offset:         16
        .size:           8
        .value_kind:     by_value
      - .offset:         24
        .size:           8
        .value_kind:     by_value
      - .offset:         32
        .size:           8
        .value_kind:     by_value
      - .actual_access:  read_only
        .address_space:  global
        .offset:         40
        .size:           8
        .value_kind:     global_buffer
      - .actual_access:  read_only
        .address_space:  global
        .offset:         48
        .size:           8
        .value_kind:     global_buffer
      - .actual_access:  read_only
        .address_space:  global
        .offset:         56
        .size:           8
        .value_kind:     global_buffer
      - .actual_access:  read_only
        .address_space:  global
        .offset:         64
        .size:           8
        .value_kind:     global_buffer
      - .offset:         72
        .size:           8
        .value_kind:     by_value
      - .offset:         80
        .size:           8
        .value_kind:     by_value
      - .offset:         88
        .size:           8
        .value_kind:     by_value
      - .address_space:  global
        .offset:         96
        .size:           8
        .value_kind:     global_buffer
      - .offset:         104
        .size:           8
        .value_kind:     by_value
      - .offset:         112
        .size:           8
        .value_kind:     by_value
      - .offset:         120
        .size:           4
        .value_kind:     by_value
      - .offset:         124
        .size:           4
        .value_kind:     by_value
      - .offset:         128
        .size:           1
        .value_kind:     by_value
      - .offset:         136
        .size:           4
        .value_kind:     hidden_block_count_x
      - .offset:         140
        .size:           4
        .value_kind:     hidden_block_count_y
      - .offset:         144
        .size:           4
        .value_kind:     hidden_block_count_z
      - .offset:         148
        .size:           2
        .value_kind:     hidden_group_size_x
      - .offset:         150
        .size:           2
        .value_kind:     hidden_group_size_y
      - .offset:         152
        .size:           2
        .value_kind:     hidden_group_size_z
      - .offset:         154
        .size:           2
        .value_kind:     hidden_remainder_x
      - .offset:         156
        .size:           2
        .value_kind:     hidden_remainder_y
      - .offset:         158
        .size:           2
        .value_kind:     hidden_remainder_z
      - .offset:         176
        .size:           8
        .value_kind:     hidden_global_offset_x
      - .offset:         184
        .size:           8
        .value_kind:     hidden_global_offset_y
      - .offset:         192
        .size:           8
        .value_kind:     hidden_global_offset_z
      - .offset:         200
        .size:           2
        .value_kind:     hidden_grid_dims
    .group_segment_fixed_size: 1792
    .kernarg_segment_align: 8
    .kernarg_segment_size: 392
    .language:       OpenCL C
    .language_version:
      - 2
      - 0
    .max_flat_workgroup_size: 64
    .name:           _ZN9rocsparseL29bsrmmnn_small_blockdim_kernelILj64ELj8ELj2EiiddddEEv20rocsparse_direction_T3_S2_llNS_24const_host_device_scalarIT7_EEPKT2_PKS2_PKT4_PKT5_llS5_PT6_ll16rocsparse_order_21rocsparse_index_base_b
    .private_segment_fixed_size: 0
    .sgpr_count:     32
    .sgpr_spill_count: 0
    .symbol:         _ZN9rocsparseL29bsrmmnn_small_blockdim_kernelILj64ELj8ELj2EiiddddEEv20rocsparse_direction_T3_S2_llNS_24const_host_device_scalarIT7_EEPKT2_PKS2_PKT4_PKT5_llS5_PT6_ll16rocsparse_order_21rocsparse_index_base_b.kd
    .uniform_work_group_size: 1
    .uses_dynamic_stack: false
    .vgpr_count:     86
    .vgpr_spill_count: 0
    .wavefront_size: 64
  - .agpr_count:     0
    .args:
      - .offset:         0
        .size:           4
        .value_kind:     by_value
      - .offset:         4
        .size:           4
        .value_kind:     by_value
      - .offset:         8
        .size:           4
        .value_kind:     by_value
      - .offset:         16
        .size:           8
        .value_kind:     by_value
      - .offset:         24
        .size:           8
        .value_kind:     by_value
      - .offset:         32
        .size:           8
        .value_kind:     by_value
      - .actual_access:  read_only
        .address_space:  global
        .offset:         40
        .size:           8
        .value_kind:     global_buffer
      - .actual_access:  read_only
        .address_space:  global
        .offset:         48
        .size:           8
        .value_kind:     global_buffer
      - .actual_access:  read_only
        .address_space:  global
        .offset:         56
        .size:           8
        .value_kind:     global_buffer
      - .actual_access:  read_only
        .address_space:  global
        .offset:         64
        .size:           8
        .value_kind:     global_buffer
      - .offset:         72
        .size:           8
        .value_kind:     by_value
      - .offset:         80
        .size:           8
        .value_kind:     by_value
      - .offset:         88
        .size:           8
        .value_kind:     by_value
      - .address_space:  global
        .offset:         96
        .size:           8
        .value_kind:     global_buffer
      - .offset:         104
        .size:           8
        .value_kind:     by_value
      - .offset:         112
        .size:           8
        .value_kind:     by_value
      - .offset:         120
        .size:           4
        .value_kind:     by_value
      - .offset:         124
        .size:           4
        .value_kind:     by_value
      - .offset:         128
        .size:           1
        .value_kind:     by_value
      - .offset:         136
        .size:           4
        .value_kind:     hidden_block_count_x
      - .offset:         140
        .size:           4
        .value_kind:     hidden_block_count_y
      - .offset:         144
        .size:           4
        .value_kind:     hidden_block_count_z
      - .offset:         148
        .size:           2
        .value_kind:     hidden_group_size_x
      - .offset:         150
        .size:           2
        .value_kind:     hidden_group_size_y
      - .offset:         152
        .size:           2
        .value_kind:     hidden_group_size_z
      - .offset:         154
        .size:           2
        .value_kind:     hidden_remainder_x
      - .offset:         156
        .size:           2
        .value_kind:     hidden_remainder_y
      - .offset:         158
        .size:           2
        .value_kind:     hidden_remainder_z
      - .offset:         176
        .size:           8
        .value_kind:     hidden_global_offset_x
      - .offset:         184
        .size:           8
        .value_kind:     hidden_global_offset_y
      - .offset:         192
        .size:           8
        .value_kind:     hidden_global_offset_z
      - .offset:         200
        .size:           2
        .value_kind:     hidden_grid_dims
    .group_segment_fixed_size: 1792
    .kernarg_segment_align: 8
    .kernarg_segment_size: 392
    .language:       OpenCL C
    .language_version:
      - 2
      - 0
    .max_flat_workgroup_size: 64
    .name:           _ZN9rocsparseL29bsrmmnn_small_blockdim_kernelILj64ELj8ELj2EliddddEEv20rocsparse_direction_T3_S2_llNS_24const_host_device_scalarIT7_EEPKT2_PKS2_PKT4_PKT5_llS5_PT6_ll16rocsparse_order_21rocsparse_index_base_b
    .private_segment_fixed_size: 0
    .sgpr_count:     33
    .sgpr_spill_count: 0
    .symbol:         _ZN9rocsparseL29bsrmmnn_small_blockdim_kernelILj64ELj8ELj2EliddddEEv20rocsparse_direction_T3_S2_llNS_24const_host_device_scalarIT7_EEPKT2_PKS2_PKT4_PKT5_llS5_PT6_ll16rocsparse_order_21rocsparse_index_base_b.kd
    .uniform_work_group_size: 1
    .uses_dynamic_stack: false
    .vgpr_count:     96
    .vgpr_spill_count: 0
    .wavefront_size: 64
  - .agpr_count:     0
    .args:
      - .offset:         0
        .size:           4
        .value_kind:     by_value
      - .offset:         8
        .size:           8
        .value_kind:     by_value
      - .offset:         16
        .size:           8
        .value_kind:     by_value
      - .offset:         24
        .size:           8
        .value_kind:     by_value
      - .offset:         32
        .size:           8
        .value_kind:     by_value
      - .offset:         40
        .size:           8
        .value_kind:     by_value
      - .actual_access:  read_only
        .address_space:  global
        .offset:         48
        .size:           8
        .value_kind:     global_buffer
      - .actual_access:  read_only
        .address_space:  global
        .offset:         56
        .size:           8
        .value_kind:     global_buffer
      - .actual_access:  read_only
        .address_space:  global
        .offset:         64
        .size:           8
        .value_kind:     global_buffer
      - .actual_access:  read_only
        .address_space:  global
        .offset:         72
        .size:           8
        .value_kind:     global_buffer
      - .offset:         80
        .size:           8
        .value_kind:     by_value
      - .offset:         88
        .size:           8
        .value_kind:     by_value
      - .offset:         96
        .size:           8
        .value_kind:     by_value
      - .address_space:  global
        .offset:         104
        .size:           8
        .value_kind:     global_buffer
      - .offset:         112
        .size:           8
        .value_kind:     by_value
      - .offset:         120
        .size:           8
        .value_kind:     by_value
      - .offset:         128
        .size:           4
        .value_kind:     by_value
      - .offset:         132
        .size:           4
        .value_kind:     by_value
      - .offset:         136
        .size:           1
        .value_kind:     by_value
      - .offset:         144
        .size:           4
        .value_kind:     hidden_block_count_x
      - .offset:         148
        .size:           4
        .value_kind:     hidden_block_count_y
      - .offset:         152
        .size:           4
        .value_kind:     hidden_block_count_z
      - .offset:         156
        .size:           2
        .value_kind:     hidden_group_size_x
      - .offset:         158
        .size:           2
        .value_kind:     hidden_group_size_y
      - .offset:         160
        .size:           2
        .value_kind:     hidden_group_size_z
      - .offset:         162
        .size:           2
        .value_kind:     hidden_remainder_x
      - .offset:         164
        .size:           2
        .value_kind:     hidden_remainder_y
      - .offset:         166
        .size:           2
        .value_kind:     hidden_remainder_z
      - .offset:         184
        .size:           8
        .value_kind:     hidden_global_offset_x
      - .offset:         192
        .size:           8
        .value_kind:     hidden_global_offset_y
      - .offset:         200
        .size:           8
        .value_kind:     hidden_global_offset_z
      - .offset:         208
        .size:           2
        .value_kind:     hidden_grid_dims
    .group_segment_fixed_size: 2048
    .kernarg_segment_align: 8
    .kernarg_segment_size: 400
    .language:       OpenCL C
    .language_version:
      - 2
      - 0
    .max_flat_workgroup_size: 64
    .name:           _ZN9rocsparseL29bsrmmnn_small_blockdim_kernelILj64ELj8ELj2EllddddEEv20rocsparse_direction_T3_S2_llNS_24const_host_device_scalarIT7_EEPKT2_PKS2_PKT4_PKT5_llS5_PT6_ll16rocsparse_order_21rocsparse_index_base_b
    .private_segment_fixed_size: 0
    .sgpr_count:     32
    .sgpr_spill_count: 0
    .symbol:         _ZN9rocsparseL29bsrmmnn_small_blockdim_kernelILj64ELj8ELj2EllddddEEv20rocsparse_direction_T3_S2_llNS_24const_host_device_scalarIT7_EEPKT2_PKS2_PKT4_PKT5_llS5_PT6_ll16rocsparse_order_21rocsparse_index_base_b.kd
    .uniform_work_group_size: 1
    .uses_dynamic_stack: false
    .vgpr_count:     96
    .vgpr_spill_count: 0
    .wavefront_size: 64
  - .agpr_count:     0
    .args:
      - .offset:         0
        .size:           4
        .value_kind:     by_value
      - .offset:         4
        .size:           4
        .value_kind:     by_value
      - .offset:         8
        .size:           4
        .value_kind:     by_value
      - .offset:         16
        .size:           8
        .value_kind:     by_value
      - .offset:         24
        .size:           8
        .value_kind:     by_value
      - .offset:         32
        .size:           8
        .value_kind:     by_value
      - .actual_access:  read_only
        .address_space:  global
        .offset:         40
        .size:           8
        .value_kind:     global_buffer
      - .actual_access:  read_only
        .address_space:  global
        .offset:         48
        .size:           8
        .value_kind:     global_buffer
      - .actual_access:  read_only
        .address_space:  global
        .offset:         56
        .size:           8
        .value_kind:     global_buffer
      - .actual_access:  read_only
        .address_space:  global
        .offset:         64
        .size:           8
        .value_kind:     global_buffer
      - .offset:         72
        .size:           8
        .value_kind:     by_value
      - .offset:         80
        .size:           8
        .value_kind:     by_value
      - .offset:         88
        .size:           8
        .value_kind:     by_value
      - .address_space:  global
        .offset:         96
        .size:           8
        .value_kind:     global_buffer
      - .offset:         104
        .size:           8
        .value_kind:     by_value
      - .offset:         112
        .size:           8
        .value_kind:     by_value
      - .offset:         120
        .size:           4
        .value_kind:     by_value
      - .offset:         124
        .size:           4
        .value_kind:     by_value
      - .offset:         128
        .size:           1
        .value_kind:     by_value
      - .offset:         136
        .size:           4
        .value_kind:     hidden_block_count_x
      - .offset:         140
        .size:           4
        .value_kind:     hidden_block_count_y
      - .offset:         144
        .size:           4
        .value_kind:     hidden_block_count_z
      - .offset:         148
        .size:           2
        .value_kind:     hidden_group_size_x
      - .offset:         150
        .size:           2
        .value_kind:     hidden_group_size_y
      - .offset:         152
        .size:           2
        .value_kind:     hidden_group_size_z
      - .offset:         154
        .size:           2
        .value_kind:     hidden_remainder_x
      - .offset:         156
        .size:           2
        .value_kind:     hidden_remainder_y
      - .offset:         158
        .size:           2
        .value_kind:     hidden_remainder_z
      - .offset:         176
        .size:           8
        .value_kind:     hidden_global_offset_x
      - .offset:         184
        .size:           8
        .value_kind:     hidden_global_offset_y
      - .offset:         192
        .size:           8
        .value_kind:     hidden_global_offset_z
      - .offset:         200
        .size:           2
        .value_kind:     hidden_grid_dims
    .group_segment_fixed_size: 1792
    .kernarg_segment_align: 8
    .kernarg_segment_size: 392
    .language:       OpenCL C
    .language_version:
      - 2
      - 0
    .max_flat_workgroup_size: 64
    .name:           _ZN9rocsparseL29bsrmmnn_small_blockdim_kernelILj64ELj8ELj2Eii21rocsparse_complex_numIfES2_S2_S2_EEv20rocsparse_direction_T3_S4_llNS_24const_host_device_scalarIT7_EEPKT2_PKS4_PKT4_PKT5_llS7_PT6_ll16rocsparse_order_21rocsparse_index_base_b
    .private_segment_fixed_size: 0
    .sgpr_count:     32
    .sgpr_spill_count: 0
    .symbol:         _ZN9rocsparseL29bsrmmnn_small_blockdim_kernelILj64ELj8ELj2Eii21rocsparse_complex_numIfES2_S2_S2_EEv20rocsparse_direction_T3_S4_llNS_24const_host_device_scalarIT7_EEPKT2_PKS4_PKT4_PKT5_llS7_PT6_ll16rocsparse_order_21rocsparse_index_base_b.kd
    .uniform_work_group_size: 1
    .uses_dynamic_stack: false
    .vgpr_count:     108
    .vgpr_spill_count: 0
    .wavefront_size: 64
  - .agpr_count:     0
    .args:
      - .offset:         0
        .size:           4
        .value_kind:     by_value
      - .offset:         4
        .size:           4
        .value_kind:     by_value
      - .offset:         8
        .size:           4
        .value_kind:     by_value
      - .offset:         16
        .size:           8
        .value_kind:     by_value
      - .offset:         24
        .size:           8
        .value_kind:     by_value
      - .offset:         32
        .size:           8
        .value_kind:     by_value
      - .actual_access:  read_only
        .address_space:  global
        .offset:         40
        .size:           8
        .value_kind:     global_buffer
      - .actual_access:  read_only
        .address_space:  global
        .offset:         48
        .size:           8
        .value_kind:     global_buffer
      - .actual_access:  read_only
        .address_space:  global
        .offset:         56
        .size:           8
        .value_kind:     global_buffer
      - .actual_access:  read_only
        .address_space:  global
        .offset:         64
        .size:           8
        .value_kind:     global_buffer
      - .offset:         72
        .size:           8
        .value_kind:     by_value
      - .offset:         80
        .size:           8
        .value_kind:     by_value
      - .offset:         88
        .size:           8
        .value_kind:     by_value
      - .address_space:  global
        .offset:         96
        .size:           8
        .value_kind:     global_buffer
      - .offset:         104
        .size:           8
        .value_kind:     by_value
      - .offset:         112
        .size:           8
        .value_kind:     by_value
      - .offset:         120
        .size:           4
        .value_kind:     by_value
      - .offset:         124
        .size:           4
        .value_kind:     by_value
      - .offset:         128
        .size:           1
        .value_kind:     by_value
      - .offset:         136
        .size:           4
        .value_kind:     hidden_block_count_x
      - .offset:         140
        .size:           4
        .value_kind:     hidden_block_count_y
      - .offset:         144
        .size:           4
        .value_kind:     hidden_block_count_z
      - .offset:         148
        .size:           2
        .value_kind:     hidden_group_size_x
      - .offset:         150
        .size:           2
        .value_kind:     hidden_group_size_y
      - .offset:         152
        .size:           2
        .value_kind:     hidden_group_size_z
      - .offset:         154
        .size:           2
        .value_kind:     hidden_remainder_x
      - .offset:         156
        .size:           2
        .value_kind:     hidden_remainder_y
      - .offset:         158
        .size:           2
        .value_kind:     hidden_remainder_z
      - .offset:         176
        .size:           8
        .value_kind:     hidden_global_offset_x
      - .offset:         184
        .size:           8
        .value_kind:     hidden_global_offset_y
      - .offset:         192
        .size:           8
        .value_kind:     hidden_global_offset_z
      - .offset:         200
        .size:           2
        .value_kind:     hidden_grid_dims
    .group_segment_fixed_size: 1792
    .kernarg_segment_align: 8
    .kernarg_segment_size: 392
    .language:       OpenCL C
    .language_version:
      - 2
      - 0
    .max_flat_workgroup_size: 64
    .name:           _ZN9rocsparseL29bsrmmnn_small_blockdim_kernelILj64ELj8ELj2Eli21rocsparse_complex_numIfES2_S2_S2_EEv20rocsparse_direction_T3_S4_llNS_24const_host_device_scalarIT7_EEPKT2_PKS4_PKT4_PKT5_llS7_PT6_ll16rocsparse_order_21rocsparse_index_base_b
    .private_segment_fixed_size: 0
    .sgpr_count:     33
    .sgpr_spill_count: 0
    .symbol:         _ZN9rocsparseL29bsrmmnn_small_blockdim_kernelILj64ELj8ELj2Eli21rocsparse_complex_numIfES2_S2_S2_EEv20rocsparse_direction_T3_S4_llNS_24const_host_device_scalarIT7_EEPKT2_PKS4_PKT4_PKT5_llS7_PT6_ll16rocsparse_order_21rocsparse_index_base_b.kd
    .uniform_work_group_size: 1
    .uses_dynamic_stack: false
    .vgpr_count:     118
    .vgpr_spill_count: 0
    .wavefront_size: 64
  - .agpr_count:     0
    .args:
      - .offset:         0
        .size:           4
        .value_kind:     by_value
      - .offset:         8
        .size:           8
        .value_kind:     by_value
      - .offset:         16
        .size:           8
        .value_kind:     by_value
      - .offset:         24
        .size:           8
        .value_kind:     by_value
      - .offset:         32
        .size:           8
        .value_kind:     by_value
      - .offset:         40
        .size:           8
        .value_kind:     by_value
      - .actual_access:  read_only
        .address_space:  global
        .offset:         48
        .size:           8
        .value_kind:     global_buffer
      - .actual_access:  read_only
        .address_space:  global
        .offset:         56
        .size:           8
        .value_kind:     global_buffer
      - .actual_access:  read_only
        .address_space:  global
        .offset:         64
        .size:           8
        .value_kind:     global_buffer
      - .actual_access:  read_only
        .address_space:  global
        .offset:         72
        .size:           8
        .value_kind:     global_buffer
      - .offset:         80
        .size:           8
        .value_kind:     by_value
      - .offset:         88
        .size:           8
        .value_kind:     by_value
      - .offset:         96
        .size:           8
        .value_kind:     by_value
      - .address_space:  global
        .offset:         104
        .size:           8
        .value_kind:     global_buffer
      - .offset:         112
        .size:           8
        .value_kind:     by_value
      - .offset:         120
        .size:           8
        .value_kind:     by_value
      - .offset:         128
        .size:           4
        .value_kind:     by_value
      - .offset:         132
        .size:           4
        .value_kind:     by_value
      - .offset:         136
        .size:           1
        .value_kind:     by_value
      - .offset:         144
        .size:           4
        .value_kind:     hidden_block_count_x
      - .offset:         148
        .size:           4
        .value_kind:     hidden_block_count_y
      - .offset:         152
        .size:           4
        .value_kind:     hidden_block_count_z
      - .offset:         156
        .size:           2
        .value_kind:     hidden_group_size_x
      - .offset:         158
        .size:           2
        .value_kind:     hidden_group_size_y
      - .offset:         160
        .size:           2
        .value_kind:     hidden_group_size_z
      - .offset:         162
        .size:           2
        .value_kind:     hidden_remainder_x
      - .offset:         164
        .size:           2
        .value_kind:     hidden_remainder_y
      - .offset:         166
        .size:           2
        .value_kind:     hidden_remainder_z
      - .offset:         184
        .size:           8
        .value_kind:     hidden_global_offset_x
      - .offset:         192
        .size:           8
        .value_kind:     hidden_global_offset_y
      - .offset:         200
        .size:           8
        .value_kind:     hidden_global_offset_z
      - .offset:         208
        .size:           2
        .value_kind:     hidden_grid_dims
    .group_segment_fixed_size: 2048
    .kernarg_segment_align: 8
    .kernarg_segment_size: 400
    .language:       OpenCL C
    .language_version:
      - 2
      - 0
    .max_flat_workgroup_size: 64
    .name:           _ZN9rocsparseL29bsrmmnn_small_blockdim_kernelILj64ELj8ELj2Ell21rocsparse_complex_numIfES2_S2_S2_EEv20rocsparse_direction_T3_S4_llNS_24const_host_device_scalarIT7_EEPKT2_PKS4_PKT4_PKT5_llS7_PT6_ll16rocsparse_order_21rocsparse_index_base_b
    .private_segment_fixed_size: 0
    .sgpr_count:     32
    .sgpr_spill_count: 0
    .symbol:         _ZN9rocsparseL29bsrmmnn_small_blockdim_kernelILj64ELj8ELj2Ell21rocsparse_complex_numIfES2_S2_S2_EEv20rocsparse_direction_T3_S4_llNS_24const_host_device_scalarIT7_EEPKT2_PKS4_PKT4_PKT5_llS7_PT6_ll16rocsparse_order_21rocsparse_index_base_b.kd
    .uniform_work_group_size: 1
    .uses_dynamic_stack: false
    .vgpr_count:     102
    .vgpr_spill_count: 0
    .wavefront_size: 64
  - .agpr_count:     0
    .args:
      - .offset:         0
        .size:           4
        .value_kind:     by_value
      - .offset:         4
        .size:           4
        .value_kind:     by_value
      - .offset:         8
        .size:           4
        .value_kind:     by_value
      - .offset:         16
        .size:           8
        .value_kind:     by_value
      - .offset:         24
        .size:           8
        .value_kind:     by_value
      - .offset:         32
        .size:           16
        .value_kind:     by_value
      - .actual_access:  read_only
        .address_space:  global
        .offset:         48
        .size:           8
        .value_kind:     global_buffer
      - .actual_access:  read_only
        .address_space:  global
        .offset:         56
        .size:           8
        .value_kind:     global_buffer
      - .actual_access:  read_only
        .address_space:  global
        .offset:         64
        .size:           8
        .value_kind:     global_buffer
      - .actual_access:  read_only
        .address_space:  global
        .offset:         72
        .size:           8
        .value_kind:     global_buffer
      - .offset:         80
        .size:           8
        .value_kind:     by_value
      - .offset:         88
        .size:           8
        .value_kind:     by_value
      - .offset:         96
        .size:           16
        .value_kind:     by_value
      - .address_space:  global
        .offset:         112
        .size:           8
        .value_kind:     global_buffer
      - .offset:         120
        .size:           8
        .value_kind:     by_value
      - .offset:         128
        .size:           8
        .value_kind:     by_value
      - .offset:         136
        .size:           4
        .value_kind:     by_value
      - .offset:         140
        .size:           4
        .value_kind:     by_value
      - .offset:         144
        .size:           1
        .value_kind:     by_value
      - .offset:         152
        .size:           4
        .value_kind:     hidden_block_count_x
      - .offset:         156
        .size:           4
        .value_kind:     hidden_block_count_y
      - .offset:         160
        .size:           4
        .value_kind:     hidden_block_count_z
      - .offset:         164
        .size:           2
        .value_kind:     hidden_group_size_x
      - .offset:         166
        .size:           2
        .value_kind:     hidden_group_size_y
      - .offset:         168
        .size:           2
        .value_kind:     hidden_group_size_z
      - .offset:         170
        .size:           2
        .value_kind:     hidden_remainder_x
      - .offset:         172
        .size:           2
        .value_kind:     hidden_remainder_y
      - .offset:         174
        .size:           2
        .value_kind:     hidden_remainder_z
      - .offset:         192
        .size:           8
        .value_kind:     hidden_global_offset_x
      - .offset:         200
        .size:           8
        .value_kind:     hidden_global_offset_y
      - .offset:         208
        .size:           8
        .value_kind:     hidden_global_offset_z
      - .offset:         216
        .size:           2
        .value_kind:     hidden_grid_dims
    .group_segment_fixed_size: 3328
    .kernarg_segment_align: 8
    .kernarg_segment_size: 408
    .language:       OpenCL C
    .language_version:
      - 2
      - 0
    .max_flat_workgroup_size: 64
    .name:           _ZN9rocsparseL29bsrmmnn_small_blockdim_kernelILj64ELj8ELj2Eii21rocsparse_complex_numIdES2_S2_S2_EEv20rocsparse_direction_T3_S4_llNS_24const_host_device_scalarIT7_EEPKT2_PKS4_PKT4_PKT5_llS7_PT6_ll16rocsparse_order_21rocsparse_index_base_b
    .private_segment_fixed_size: 24
    .sgpr_count:     38
    .sgpr_spill_count: 0
    .symbol:         _ZN9rocsparseL29bsrmmnn_small_blockdim_kernelILj64ELj8ELj2Eii21rocsparse_complex_numIdES2_S2_S2_EEv20rocsparse_direction_T3_S4_llNS_24const_host_device_scalarIT7_EEPKT2_PKS4_PKT4_PKT5_llS7_PT6_ll16rocsparse_order_21rocsparse_index_base_b.kd
    .uniform_work_group_size: 1
    .uses_dynamic_stack: false
    .vgpr_count:     122
    .vgpr_spill_count: 0
    .wavefront_size: 64
  - .agpr_count:     0
    .args:
      - .offset:         0
        .size:           4
        .value_kind:     by_value
      - .offset:         4
        .size:           4
        .value_kind:     by_value
      - .offset:         8
        .size:           4
        .value_kind:     by_value
      - .offset:         16
        .size:           8
        .value_kind:     by_value
      - .offset:         24
        .size:           8
        .value_kind:     by_value
      - .offset:         32
        .size:           16
        .value_kind:     by_value
      - .actual_access:  read_only
        .address_space:  global
        .offset:         48
        .size:           8
        .value_kind:     global_buffer
      - .actual_access:  read_only
        .address_space:  global
        .offset:         56
        .size:           8
        .value_kind:     global_buffer
      - .actual_access:  read_only
        .address_space:  global
        .offset:         64
        .size:           8
        .value_kind:     global_buffer
      - .actual_access:  read_only
        .address_space:  global
        .offset:         72
        .size:           8
        .value_kind:     global_buffer
      - .offset:         80
        .size:           8
        .value_kind:     by_value
      - .offset:         88
        .size:           8
        .value_kind:     by_value
      - .offset:         96
        .size:           16
        .value_kind:     by_value
      - .address_space:  global
        .offset:         112
        .size:           8
        .value_kind:     global_buffer
      - .offset:         120
        .size:           8
        .value_kind:     by_value
      - .offset:         128
        .size:           8
        .value_kind:     by_value
      - .offset:         136
        .size:           4
        .value_kind:     by_value
      - .offset:         140
        .size:           4
        .value_kind:     by_value
      - .offset:         144
        .size:           1
        .value_kind:     by_value
      - .offset:         152
        .size:           4
        .value_kind:     hidden_block_count_x
      - .offset:         156
        .size:           4
        .value_kind:     hidden_block_count_y
      - .offset:         160
        .size:           4
        .value_kind:     hidden_block_count_z
      - .offset:         164
        .size:           2
        .value_kind:     hidden_group_size_x
      - .offset:         166
        .size:           2
        .value_kind:     hidden_group_size_y
      - .offset:         168
        .size:           2
        .value_kind:     hidden_group_size_z
      - .offset:         170
        .size:           2
        .value_kind:     hidden_remainder_x
      - .offset:         172
        .size:           2
        .value_kind:     hidden_remainder_y
      - .offset:         174
        .size:           2
        .value_kind:     hidden_remainder_z
      - .offset:         192
        .size:           8
        .value_kind:     hidden_global_offset_x
      - .offset:         200
        .size:           8
        .value_kind:     hidden_global_offset_y
      - .offset:         208
        .size:           8
        .value_kind:     hidden_global_offset_z
      - .offset:         216
        .size:           2
        .value_kind:     hidden_grid_dims
    .group_segment_fixed_size: 3328
    .kernarg_segment_align: 8
    .kernarg_segment_size: 408
    .language:       OpenCL C
    .language_version:
      - 2
      - 0
    .max_flat_workgroup_size: 64
    .name:           _ZN9rocsparseL29bsrmmnn_small_blockdim_kernelILj64ELj8ELj2Eli21rocsparse_complex_numIdES2_S2_S2_EEv20rocsparse_direction_T3_S4_llNS_24const_host_device_scalarIT7_EEPKT2_PKS4_PKT4_PKT5_llS7_PT6_ll16rocsparse_order_21rocsparse_index_base_b
    .private_segment_fixed_size: 24
    .sgpr_count:     38
    .sgpr_spill_count: 0
    .symbol:         _ZN9rocsparseL29bsrmmnn_small_blockdim_kernelILj64ELj8ELj2Eli21rocsparse_complex_numIdES2_S2_S2_EEv20rocsparse_direction_T3_S4_llNS_24const_host_device_scalarIT7_EEPKT2_PKS4_PKT4_PKT5_llS7_PT6_ll16rocsparse_order_21rocsparse_index_base_b.kd
    .uniform_work_group_size: 1
    .uses_dynamic_stack: false
    .vgpr_count:     122
    .vgpr_spill_count: 0
    .wavefront_size: 64
  - .agpr_count:     0
    .args:
      - .offset:         0
        .size:           4
        .value_kind:     by_value
      - .offset:         8
        .size:           8
        .value_kind:     by_value
      - .offset:         16
        .size:           8
        .value_kind:     by_value
      - .offset:         24
        .size:           8
        .value_kind:     by_value
      - .offset:         32
        .size:           8
        .value_kind:     by_value
      - .offset:         40
        .size:           16
        .value_kind:     by_value
      - .actual_access:  read_only
        .address_space:  global
        .offset:         56
        .size:           8
        .value_kind:     global_buffer
      - .actual_access:  read_only
        .address_space:  global
        .offset:         64
        .size:           8
        .value_kind:     global_buffer
      - .actual_access:  read_only
        .address_space:  global
        .offset:         72
        .size:           8
        .value_kind:     global_buffer
      - .actual_access:  read_only
        .address_space:  global
        .offset:         80
        .size:           8
        .value_kind:     global_buffer
      - .offset:         88
        .size:           8
        .value_kind:     by_value
      - .offset:         96
        .size:           8
        .value_kind:     by_value
      - .offset:         104
        .size:           16
        .value_kind:     by_value
      - .address_space:  global
        .offset:         120
        .size:           8
        .value_kind:     global_buffer
      - .offset:         128
        .size:           8
        .value_kind:     by_value
      - .offset:         136
        .size:           8
        .value_kind:     by_value
      - .offset:         144
        .size:           4
        .value_kind:     by_value
      - .offset:         148
        .size:           4
        .value_kind:     by_value
      - .offset:         152
        .size:           1
        .value_kind:     by_value
      - .offset:         160
        .size:           4
        .value_kind:     hidden_block_count_x
      - .offset:         164
        .size:           4
        .value_kind:     hidden_block_count_y
      - .offset:         168
        .size:           4
        .value_kind:     hidden_block_count_z
      - .offset:         172
        .size:           2
        .value_kind:     hidden_group_size_x
      - .offset:         174
        .size:           2
        .value_kind:     hidden_group_size_y
      - .offset:         176
        .size:           2
        .value_kind:     hidden_group_size_z
      - .offset:         178
        .size:           2
        .value_kind:     hidden_remainder_x
      - .offset:         180
        .size:           2
        .value_kind:     hidden_remainder_y
      - .offset:         182
        .size:           2
        .value_kind:     hidden_remainder_z
      - .offset:         200
        .size:           8
        .value_kind:     hidden_global_offset_x
      - .offset:         208
        .size:           8
        .value_kind:     hidden_global_offset_y
      - .offset:         216
        .size:           8
        .value_kind:     hidden_global_offset_z
      - .offset:         224
        .size:           2
        .value_kind:     hidden_grid_dims
    .group_segment_fixed_size: 3584
    .kernarg_segment_align: 8
    .kernarg_segment_size: 416
    .language:       OpenCL C
    .language_version:
      - 2
      - 0
    .max_flat_workgroup_size: 64
    .name:           _ZN9rocsparseL29bsrmmnn_small_blockdim_kernelILj64ELj8ELj2Ell21rocsparse_complex_numIdES2_S2_S2_EEv20rocsparse_direction_T3_S4_llNS_24const_host_device_scalarIT7_EEPKT2_PKS4_PKT4_PKT5_llS7_PT6_ll16rocsparse_order_21rocsparse_index_base_b
    .private_segment_fixed_size: 24
    .sgpr_count:     40
    .sgpr_spill_count: 0
    .symbol:         _ZN9rocsparseL29bsrmmnn_small_blockdim_kernelILj64ELj8ELj2Ell21rocsparse_complex_numIdES2_S2_S2_EEv20rocsparse_direction_T3_S4_llNS_24const_host_device_scalarIT7_EEPKT2_PKS4_PKT4_PKT5_llS7_PT6_ll16rocsparse_order_21rocsparse_index_base_b.kd
    .uniform_work_group_size: 1
    .uses_dynamic_stack: false
    .vgpr_count:     122
    .vgpr_spill_count: 0
    .wavefront_size: 64
  - .agpr_count:     0
    .args:
      - .offset:         0
        .size:           4
        .value_kind:     by_value
      - .offset:         4
        .size:           4
        .value_kind:     by_value
      - .offset:         8
        .size:           4
        .value_kind:     by_value
      - .offset:         16
        .size:           8
        .value_kind:     by_value
      - .offset:         24
        .size:           8
        .value_kind:     by_value
      - .offset:         32
        .size:           8
        .value_kind:     by_value
      - .actual_access:  read_only
        .address_space:  global
        .offset:         40
        .size:           8
        .value_kind:     global_buffer
      - .actual_access:  read_only
        .address_space:  global
        .offset:         48
        .size:           8
        .value_kind:     global_buffer
      - .actual_access:  read_only
        .address_space:  global
        .offset:         56
        .size:           8
        .value_kind:     global_buffer
      - .actual_access:  read_only
        .address_space:  global
        .offset:         64
        .size:           8
        .value_kind:     global_buffer
      - .offset:         72
        .size:           8
        .value_kind:     by_value
      - .offset:         80
        .size:           8
        .value_kind:     by_value
      - .offset:         88
        .size:           8
        .value_kind:     by_value
      - .address_space:  global
        .offset:         96
        .size:           8
        .value_kind:     global_buffer
      - .offset:         104
        .size:           8
        .value_kind:     by_value
      - .offset:         112
        .size:           8
        .value_kind:     by_value
      - .offset:         120
        .size:           4
        .value_kind:     by_value
      - .offset:         124
        .size:           4
        .value_kind:     by_value
      - .offset:         128
        .size:           1
        .value_kind:     by_value
      - .offset:         136
        .size:           4
        .value_kind:     hidden_block_count_x
      - .offset:         140
        .size:           4
        .value_kind:     hidden_block_count_y
      - .offset:         144
        .size:           4
        .value_kind:     hidden_block_count_z
      - .offset:         148
        .size:           2
        .value_kind:     hidden_group_size_x
      - .offset:         150
        .size:           2
        .value_kind:     hidden_group_size_y
      - .offset:         152
        .size:           2
        .value_kind:     hidden_group_size_z
      - .offset:         154
        .size:           2
        .value_kind:     hidden_remainder_x
      - .offset:         156
        .size:           2
        .value_kind:     hidden_remainder_y
      - .offset:         158
        .size:           2
        .value_kind:     hidden_remainder_z
      - .offset:         176
        .size:           8
        .value_kind:     hidden_global_offset_x
      - .offset:         184
        .size:           8
        .value_kind:     hidden_global_offset_y
      - .offset:         192
        .size:           8
        .value_kind:     hidden_global_offset_z
      - .offset:         200
        .size:           2
        .value_kind:     hidden_grid_dims
    .group_segment_fixed_size: 640
    .kernarg_segment_align: 8
    .kernarg_segment_size: 392
    .language:       OpenCL C
    .language_version:
      - 2
      - 0
    .max_flat_workgroup_size: 64
    .name:           _ZN9rocsparseL29bsrmmnn_small_blockdim_kernelILj64ELj8ELj2EiiDF16_DF16_ffEEv20rocsparse_direction_T3_S2_llNS_24const_host_device_scalarIT7_EEPKT2_PKS2_PKT4_PKT5_llS5_PT6_ll16rocsparse_order_21rocsparse_index_base_b
    .private_segment_fixed_size: 0
    .sgpr_count:     34
    .sgpr_spill_count: 0
    .symbol:         _ZN9rocsparseL29bsrmmnn_small_blockdim_kernelILj64ELj8ELj2EiiDF16_DF16_ffEEv20rocsparse_direction_T3_S2_llNS_24const_host_device_scalarIT7_EEPKT2_PKS2_PKT4_PKT5_llS5_PT6_ll16rocsparse_order_21rocsparse_index_base_b.kd
    .uniform_work_group_size: 1
    .uses_dynamic_stack: false
    .vgpr_count:     41
    .vgpr_spill_count: 0
    .wavefront_size: 64
  - .agpr_count:     0
    .args:
      - .offset:         0
        .size:           4
        .value_kind:     by_value
      - .offset:         4
        .size:           4
        .value_kind:     by_value
      - .offset:         8
        .size:           4
        .value_kind:     by_value
      - .offset:         16
        .size:           8
        .value_kind:     by_value
      - .offset:         24
        .size:           8
        .value_kind:     by_value
      - .offset:         32
        .size:           8
        .value_kind:     by_value
      - .actual_access:  read_only
        .address_space:  global
        .offset:         40
        .size:           8
        .value_kind:     global_buffer
      - .actual_access:  read_only
        .address_space:  global
        .offset:         48
        .size:           8
        .value_kind:     global_buffer
      - .actual_access:  read_only
        .address_space:  global
        .offset:         56
        .size:           8
        .value_kind:     global_buffer
      - .actual_access:  read_only
        .address_space:  global
        .offset:         64
        .size:           8
        .value_kind:     global_buffer
      - .offset:         72
        .size:           8
        .value_kind:     by_value
      - .offset:         80
        .size:           8
        .value_kind:     by_value
      - .offset:         88
        .size:           8
        .value_kind:     by_value
      - .address_space:  global
        .offset:         96
        .size:           8
        .value_kind:     global_buffer
      - .offset:         104
        .size:           8
        .value_kind:     by_value
      - .offset:         112
        .size:           8
        .value_kind:     by_value
      - .offset:         120
        .size:           4
        .value_kind:     by_value
      - .offset:         124
        .size:           4
        .value_kind:     by_value
      - .offset:         128
        .size:           1
        .value_kind:     by_value
      - .offset:         136
        .size:           4
        .value_kind:     hidden_block_count_x
      - .offset:         140
        .size:           4
        .value_kind:     hidden_block_count_y
      - .offset:         144
        .size:           4
        .value_kind:     hidden_block_count_z
      - .offset:         148
        .size:           2
        .value_kind:     hidden_group_size_x
      - .offset:         150
        .size:           2
        .value_kind:     hidden_group_size_y
      - .offset:         152
        .size:           2
        .value_kind:     hidden_group_size_z
      - .offset:         154
        .size:           2
        .value_kind:     hidden_remainder_x
      - .offset:         156
        .size:           2
        .value_kind:     hidden_remainder_y
      - .offset:         158
        .size:           2
        .value_kind:     hidden_remainder_z
      - .offset:         176
        .size:           8
        .value_kind:     hidden_global_offset_x
      - .offset:         184
        .size:           8
        .value_kind:     hidden_global_offset_y
      - .offset:         192
        .size:           8
        .value_kind:     hidden_global_offset_z
      - .offset:         200
        .size:           2
        .value_kind:     hidden_grid_dims
    .group_segment_fixed_size: 640
    .kernarg_segment_align: 8
    .kernarg_segment_size: 392
    .language:       OpenCL C
    .language_version:
      - 2
      - 0
    .max_flat_workgroup_size: 64
    .name:           _ZN9rocsparseL29bsrmmnn_small_blockdim_kernelILj64ELj8ELj2EliDF16_DF16_ffEEv20rocsparse_direction_T3_S2_llNS_24const_host_device_scalarIT7_EEPKT2_PKS2_PKT4_PKT5_llS5_PT6_ll16rocsparse_order_21rocsparse_index_base_b
    .private_segment_fixed_size: 0
    .sgpr_count:     34
    .sgpr_spill_count: 0
    .symbol:         _ZN9rocsparseL29bsrmmnn_small_blockdim_kernelILj64ELj8ELj2EliDF16_DF16_ffEEv20rocsparse_direction_T3_S2_llNS_24const_host_device_scalarIT7_EEPKT2_PKS2_PKT4_PKT5_llS5_PT6_ll16rocsparse_order_21rocsparse_index_base_b.kd
    .uniform_work_group_size: 1
    .uses_dynamic_stack: false
    .vgpr_count:     52
    .vgpr_spill_count: 0
    .wavefront_size: 64
  - .agpr_count:     0
    .args:
      - .offset:         0
        .size:           4
        .value_kind:     by_value
      - .offset:         8
        .size:           8
        .value_kind:     by_value
      - .offset:         16
        .size:           8
        .value_kind:     by_value
      - .offset:         24
        .size:           8
        .value_kind:     by_value
      - .offset:         32
        .size:           8
        .value_kind:     by_value
      - .offset:         40
        .size:           8
        .value_kind:     by_value
      - .actual_access:  read_only
        .address_space:  global
        .offset:         48
        .size:           8
        .value_kind:     global_buffer
      - .actual_access:  read_only
        .address_space:  global
        .offset:         56
        .size:           8
        .value_kind:     global_buffer
      - .actual_access:  read_only
        .address_space:  global
        .offset:         64
        .size:           8
        .value_kind:     global_buffer
      - .actual_access:  read_only
        .address_space:  global
        .offset:         72
        .size:           8
        .value_kind:     global_buffer
      - .offset:         80
        .size:           8
        .value_kind:     by_value
      - .offset:         88
        .size:           8
        .value_kind:     by_value
      - .offset:         96
        .size:           8
        .value_kind:     by_value
      - .address_space:  global
        .offset:         104
        .size:           8
        .value_kind:     global_buffer
      - .offset:         112
        .size:           8
        .value_kind:     by_value
      - .offset:         120
        .size:           8
        .value_kind:     by_value
      - .offset:         128
        .size:           4
        .value_kind:     by_value
      - .offset:         132
        .size:           4
        .value_kind:     by_value
      - .offset:         136
        .size:           1
        .value_kind:     by_value
      - .offset:         144
        .size:           4
        .value_kind:     hidden_block_count_x
      - .offset:         148
        .size:           4
        .value_kind:     hidden_block_count_y
      - .offset:         152
        .size:           4
        .value_kind:     hidden_block_count_z
      - .offset:         156
        .size:           2
        .value_kind:     hidden_group_size_x
      - .offset:         158
        .size:           2
        .value_kind:     hidden_group_size_y
      - .offset:         160
        .size:           2
        .value_kind:     hidden_group_size_z
      - .offset:         162
        .size:           2
        .value_kind:     hidden_remainder_x
      - .offset:         164
        .size:           2
        .value_kind:     hidden_remainder_y
      - .offset:         166
        .size:           2
        .value_kind:     hidden_remainder_z
      - .offset:         184
        .size:           8
        .value_kind:     hidden_global_offset_x
      - .offset:         192
        .size:           8
        .value_kind:     hidden_global_offset_y
      - .offset:         200
        .size:           8
        .value_kind:     hidden_global_offset_z
      - .offset:         208
        .size:           2
        .value_kind:     hidden_grid_dims
    .group_segment_fixed_size: 896
    .kernarg_segment_align: 8
    .kernarg_segment_size: 400
    .language:       OpenCL C
    .language_version:
      - 2
      - 0
    .max_flat_workgroup_size: 64
    .name:           _ZN9rocsparseL29bsrmmnn_small_blockdim_kernelILj64ELj8ELj2EllDF16_DF16_ffEEv20rocsparse_direction_T3_S2_llNS_24const_host_device_scalarIT7_EEPKT2_PKS2_PKT4_PKT5_llS5_PT6_ll16rocsparse_order_21rocsparse_index_base_b
    .private_segment_fixed_size: 0
    .sgpr_count:     34
    .sgpr_spill_count: 0
    .symbol:         _ZN9rocsparseL29bsrmmnn_small_blockdim_kernelILj64ELj8ELj2EllDF16_DF16_ffEEv20rocsparse_direction_T3_S2_llNS_24const_host_device_scalarIT7_EEPKT2_PKS2_PKT4_PKT5_llS5_PT6_ll16rocsparse_order_21rocsparse_index_base_b.kd
    .uniform_work_group_size: 1
    .uses_dynamic_stack: false
    .vgpr_count:     53
    .vgpr_spill_count: 0
    .wavefront_size: 64
  - .agpr_count:     0
    .args:
      - .offset:         0
        .size:           4
        .value_kind:     by_value
      - .offset:         4
        .size:           4
        .value_kind:     by_value
      - .offset:         8
        .size:           4
        .value_kind:     by_value
      - .offset:         16
        .size:           8
        .value_kind:     by_value
      - .offset:         24
        .size:           8
        .value_kind:     by_value
      - .offset:         32
        .size:           8
        .value_kind:     by_value
      - .actual_access:  read_only
        .address_space:  global
        .offset:         40
        .size:           8
        .value_kind:     global_buffer
      - .actual_access:  read_only
        .address_space:  global
        .offset:         48
        .size:           8
        .value_kind:     global_buffer
      - .actual_access:  read_only
        .address_space:  global
        .offset:         56
        .size:           8
        .value_kind:     global_buffer
      - .actual_access:  read_only
        .address_space:  global
        .offset:         64
        .size:           8
        .value_kind:     global_buffer
      - .offset:         72
        .size:           8
        .value_kind:     by_value
      - .offset:         80
        .size:           8
        .value_kind:     by_value
      - .offset:         88
        .size:           8
        .value_kind:     by_value
      - .address_space:  global
        .offset:         96
        .size:           8
        .value_kind:     global_buffer
      - .offset:         104
        .size:           8
        .value_kind:     by_value
      - .offset:         112
        .size:           8
        .value_kind:     by_value
      - .offset:         120
        .size:           4
        .value_kind:     by_value
      - .offset:         124
        .size:           4
        .value_kind:     by_value
      - .offset:         128
        .size:           1
        .value_kind:     by_value
      - .offset:         136
        .size:           4
        .value_kind:     hidden_block_count_x
      - .offset:         140
        .size:           4
        .value_kind:     hidden_block_count_y
      - .offset:         144
        .size:           4
        .value_kind:     hidden_block_count_z
      - .offset:         148
        .size:           2
        .value_kind:     hidden_group_size_x
      - .offset:         150
        .size:           2
        .value_kind:     hidden_group_size_y
      - .offset:         152
        .size:           2
        .value_kind:     hidden_group_size_z
      - .offset:         154
        .size:           2
        .value_kind:     hidden_remainder_x
      - .offset:         156
        .size:           2
        .value_kind:     hidden_remainder_y
      - .offset:         158
        .size:           2
        .value_kind:     hidden_remainder_z
      - .offset:         176
        .size:           8
        .value_kind:     hidden_global_offset_x
      - .offset:         184
        .size:           8
        .value_kind:     hidden_global_offset_y
      - .offset:         192
        .size:           8
        .value_kind:     hidden_global_offset_z
      - .offset:         200
        .size:           2
        .value_kind:     hidden_grid_dims
    .group_segment_fixed_size: 448
    .kernarg_segment_align: 8
    .kernarg_segment_size: 392
    .language:       OpenCL C
    .language_version:
      - 2
      - 0
    .max_flat_workgroup_size: 64
    .name:           _ZN9rocsparseL29bsrmmnn_small_blockdim_kernelILj64ELj8ELj2EiiaaiiEEv20rocsparse_direction_T3_S2_llNS_24const_host_device_scalarIT7_EEPKT2_PKS2_PKT4_PKT5_llS5_PT6_ll16rocsparse_order_21rocsparse_index_base_b
    .private_segment_fixed_size: 0
    .sgpr_count:     34
    .sgpr_spill_count: 0
    .symbol:         _ZN9rocsparseL29bsrmmnn_small_blockdim_kernelILj64ELj8ELj2EiiaaiiEEv20rocsparse_direction_T3_S2_llNS_24const_host_device_scalarIT7_EEPKT2_PKS2_PKT4_PKT5_llS5_PT6_ll16rocsparse_order_21rocsparse_index_base_b.kd
    .uniform_work_group_size: 1
    .uses_dynamic_stack: false
    .vgpr_count:     45
    .vgpr_spill_count: 0
    .wavefront_size: 64
  - .agpr_count:     0
    .args:
      - .offset:         0
        .size:           4
        .value_kind:     by_value
      - .offset:         4
        .size:           4
        .value_kind:     by_value
      - .offset:         8
        .size:           4
        .value_kind:     by_value
      - .offset:         16
        .size:           8
        .value_kind:     by_value
      - .offset:         24
        .size:           8
        .value_kind:     by_value
      - .offset:         32
        .size:           8
        .value_kind:     by_value
      - .actual_access:  read_only
        .address_space:  global
        .offset:         40
        .size:           8
        .value_kind:     global_buffer
      - .actual_access:  read_only
        .address_space:  global
        .offset:         48
        .size:           8
        .value_kind:     global_buffer
      - .actual_access:  read_only
        .address_space:  global
        .offset:         56
        .size:           8
        .value_kind:     global_buffer
      - .actual_access:  read_only
        .address_space:  global
        .offset:         64
        .size:           8
        .value_kind:     global_buffer
      - .offset:         72
        .size:           8
        .value_kind:     by_value
      - .offset:         80
        .size:           8
        .value_kind:     by_value
      - .offset:         88
        .size:           8
        .value_kind:     by_value
      - .address_space:  global
        .offset:         96
        .size:           8
        .value_kind:     global_buffer
      - .offset:         104
        .size:           8
        .value_kind:     by_value
      - .offset:         112
        .size:           8
        .value_kind:     by_value
      - .offset:         120
        .size:           4
        .value_kind:     by_value
      - .offset:         124
        .size:           4
        .value_kind:     by_value
      - .offset:         128
        .size:           1
        .value_kind:     by_value
      - .offset:         136
        .size:           4
        .value_kind:     hidden_block_count_x
      - .offset:         140
        .size:           4
        .value_kind:     hidden_block_count_y
      - .offset:         144
        .size:           4
        .value_kind:     hidden_block_count_z
      - .offset:         148
        .size:           2
        .value_kind:     hidden_group_size_x
      - .offset:         150
        .size:           2
        .value_kind:     hidden_group_size_y
      - .offset:         152
        .size:           2
        .value_kind:     hidden_group_size_z
      - .offset:         154
        .size:           2
        .value_kind:     hidden_remainder_x
      - .offset:         156
        .size:           2
        .value_kind:     hidden_remainder_y
      - .offset:         158
        .size:           2
        .value_kind:     hidden_remainder_z
      - .offset:         176
        .size:           8
        .value_kind:     hidden_global_offset_x
      - .offset:         184
        .size:           8
        .value_kind:     hidden_global_offset_y
      - .offset:         192
        .size:           8
        .value_kind:     hidden_global_offset_z
      - .offset:         200
        .size:           2
        .value_kind:     hidden_grid_dims
    .group_segment_fixed_size: 448
    .kernarg_segment_align: 8
    .kernarg_segment_size: 392
    .language:       OpenCL C
    .language_version:
      - 2
      - 0
    .max_flat_workgroup_size: 64
    .name:           _ZN9rocsparseL29bsrmmnn_small_blockdim_kernelILj64ELj8ELj2EliaaiiEEv20rocsparse_direction_T3_S2_llNS_24const_host_device_scalarIT7_EEPKT2_PKS2_PKT4_PKT5_llS5_PT6_ll16rocsparse_order_21rocsparse_index_base_b
    .private_segment_fixed_size: 0
    .sgpr_count:     34
    .sgpr_spill_count: 0
    .symbol:         _ZN9rocsparseL29bsrmmnn_small_blockdim_kernelILj64ELj8ELj2EliaaiiEEv20rocsparse_direction_T3_S2_llNS_24const_host_device_scalarIT7_EEPKT2_PKS2_PKT4_PKT5_llS5_PT6_ll16rocsparse_order_21rocsparse_index_base_b.kd
    .uniform_work_group_size: 1
    .uses_dynamic_stack: false
    .vgpr_count:     52
    .vgpr_spill_count: 0
    .wavefront_size: 64
  - .agpr_count:     0
    .args:
      - .offset:         0
        .size:           4
        .value_kind:     by_value
      - .offset:         8
        .size:           8
        .value_kind:     by_value
      - .offset:         16
        .size:           8
        .value_kind:     by_value
      - .offset:         24
        .size:           8
        .value_kind:     by_value
      - .offset:         32
        .size:           8
        .value_kind:     by_value
      - .offset:         40
        .size:           8
        .value_kind:     by_value
      - .actual_access:  read_only
        .address_space:  global
        .offset:         48
        .size:           8
        .value_kind:     global_buffer
      - .actual_access:  read_only
        .address_space:  global
        .offset:         56
        .size:           8
        .value_kind:     global_buffer
      - .actual_access:  read_only
        .address_space:  global
        .offset:         64
        .size:           8
        .value_kind:     global_buffer
      - .actual_access:  read_only
        .address_space:  global
        .offset:         72
        .size:           8
        .value_kind:     global_buffer
      - .offset:         80
        .size:           8
        .value_kind:     by_value
      - .offset:         88
        .size:           8
        .value_kind:     by_value
      - .offset:         96
        .size:           8
        .value_kind:     by_value
      - .address_space:  global
        .offset:         104
        .size:           8
        .value_kind:     global_buffer
      - .offset:         112
        .size:           8
        .value_kind:     by_value
      - .offset:         120
        .size:           8
        .value_kind:     by_value
      - .offset:         128
        .size:           4
        .value_kind:     by_value
      - .offset:         132
        .size:           4
        .value_kind:     by_value
      - .offset:         136
        .size:           1
        .value_kind:     by_value
      - .offset:         144
        .size:           4
        .value_kind:     hidden_block_count_x
      - .offset:         148
        .size:           4
        .value_kind:     hidden_block_count_y
      - .offset:         152
        .size:           4
        .value_kind:     hidden_block_count_z
      - .offset:         156
        .size:           2
        .value_kind:     hidden_group_size_x
      - .offset:         158
        .size:           2
        .value_kind:     hidden_group_size_y
      - .offset:         160
        .size:           2
        .value_kind:     hidden_group_size_z
      - .offset:         162
        .size:           2
        .value_kind:     hidden_remainder_x
      - .offset:         164
        .size:           2
        .value_kind:     hidden_remainder_y
      - .offset:         166
        .size:           2
        .value_kind:     hidden_remainder_z
      - .offset:         184
        .size:           8
        .value_kind:     hidden_global_offset_x
      - .offset:         192
        .size:           8
        .value_kind:     hidden_global_offset_y
      - .offset:         200
        .size:           8
        .value_kind:     hidden_global_offset_z
      - .offset:         208
        .size:           2
        .value_kind:     hidden_grid_dims
    .group_segment_fixed_size: 704
    .kernarg_segment_align: 8
    .kernarg_segment_size: 400
    .language:       OpenCL C
    .language_version:
      - 2
      - 0
    .max_flat_workgroup_size: 64
    .name:           _ZN9rocsparseL29bsrmmnn_small_blockdim_kernelILj64ELj8ELj2EllaaiiEEv20rocsparse_direction_T3_S2_llNS_24const_host_device_scalarIT7_EEPKT2_PKS2_PKT4_PKT5_llS5_PT6_ll16rocsparse_order_21rocsparse_index_base_b
    .private_segment_fixed_size: 0
    .sgpr_count:     36
    .sgpr_spill_count: 0
    .symbol:         _ZN9rocsparseL29bsrmmnn_small_blockdim_kernelILj64ELj8ELj2EllaaiiEEv20rocsparse_direction_T3_S2_llNS_24const_host_device_scalarIT7_EEPKT2_PKS2_PKT4_PKT5_llS5_PT6_ll16rocsparse_order_21rocsparse_index_base_b.kd
    .uniform_work_group_size: 1
    .uses_dynamic_stack: false
    .vgpr_count:     52
    .vgpr_spill_count: 0
    .wavefront_size: 64
  - .agpr_count:     0
    .args:
      - .offset:         0
        .size:           4
        .value_kind:     by_value
      - .offset:         4
        .size:           4
        .value_kind:     by_value
      - .offset:         8
        .size:           4
        .value_kind:     by_value
      - .offset:         16
        .size:           8
        .value_kind:     by_value
      - .offset:         24
        .size:           8
        .value_kind:     by_value
      - .offset:         32
        .size:           8
        .value_kind:     by_value
      - .actual_access:  read_only
        .address_space:  global
        .offset:         40
        .size:           8
        .value_kind:     global_buffer
      - .actual_access:  read_only
        .address_space:  global
        .offset:         48
        .size:           8
        .value_kind:     global_buffer
      - .actual_access:  read_only
        .address_space:  global
        .offset:         56
        .size:           8
        .value_kind:     global_buffer
      - .actual_access:  read_only
        .address_space:  global
        .offset:         64
        .size:           8
        .value_kind:     global_buffer
      - .offset:         72
        .size:           8
        .value_kind:     by_value
      - .offset:         80
        .size:           8
        .value_kind:     by_value
      - .offset:         88
        .size:           8
        .value_kind:     by_value
      - .address_space:  global
        .offset:         96
        .size:           8
        .value_kind:     global_buffer
      - .offset:         104
        .size:           8
        .value_kind:     by_value
      - .offset:         112
        .size:           8
        .value_kind:     by_value
      - .offset:         120
        .size:           4
        .value_kind:     by_value
      - .offset:         124
        .size:           4
        .value_kind:     by_value
      - .offset:         128
        .size:           1
        .value_kind:     by_value
      - .offset:         136
        .size:           4
        .value_kind:     hidden_block_count_x
      - .offset:         140
        .size:           4
        .value_kind:     hidden_block_count_y
      - .offset:         144
        .size:           4
        .value_kind:     hidden_block_count_z
      - .offset:         148
        .size:           2
        .value_kind:     hidden_group_size_x
      - .offset:         150
        .size:           2
        .value_kind:     hidden_group_size_y
      - .offset:         152
        .size:           2
        .value_kind:     hidden_group_size_z
      - .offset:         154
        .size:           2
        .value_kind:     hidden_remainder_x
      - .offset:         156
        .size:           2
        .value_kind:     hidden_remainder_y
      - .offset:         158
        .size:           2
        .value_kind:     hidden_remainder_z
      - .offset:         176
        .size:           8
        .value_kind:     hidden_global_offset_x
      - .offset:         184
        .size:           8
        .value_kind:     hidden_global_offset_y
      - .offset:         192
        .size:           8
        .value_kind:     hidden_global_offset_z
      - .offset:         200
        .size:           2
        .value_kind:     hidden_grid_dims
    .group_segment_fixed_size: 448
    .kernarg_segment_align: 8
    .kernarg_segment_size: 392
    .language:       OpenCL C
    .language_version:
      - 2
      - 0
    .max_flat_workgroup_size: 64
    .name:           _ZN9rocsparseL29bsrmmnn_small_blockdim_kernelILj64ELj8ELj2EiiaaffEEv20rocsparse_direction_T3_S2_llNS_24const_host_device_scalarIT7_EEPKT2_PKS2_PKT4_PKT5_llS5_PT6_ll16rocsparse_order_21rocsparse_index_base_b
    .private_segment_fixed_size: 0
    .sgpr_count:     34
    .sgpr_spill_count: 0
    .symbol:         _ZN9rocsparseL29bsrmmnn_small_blockdim_kernelILj64ELj8ELj2EiiaaffEEv20rocsparse_direction_T3_S2_llNS_24const_host_device_scalarIT7_EEPKT2_PKS2_PKT4_PKT5_llS5_PT6_ll16rocsparse_order_21rocsparse_index_base_b.kd
    .uniform_work_group_size: 1
    .uses_dynamic_stack: false
    .vgpr_count:     48
    .vgpr_spill_count: 0
    .wavefront_size: 64
  - .agpr_count:     0
    .args:
      - .offset:         0
        .size:           4
        .value_kind:     by_value
      - .offset:         4
        .size:           4
        .value_kind:     by_value
      - .offset:         8
        .size:           4
        .value_kind:     by_value
      - .offset:         16
        .size:           8
        .value_kind:     by_value
      - .offset:         24
        .size:           8
        .value_kind:     by_value
      - .offset:         32
        .size:           8
        .value_kind:     by_value
      - .actual_access:  read_only
        .address_space:  global
        .offset:         40
        .size:           8
        .value_kind:     global_buffer
      - .actual_access:  read_only
        .address_space:  global
        .offset:         48
        .size:           8
        .value_kind:     global_buffer
      - .actual_access:  read_only
        .address_space:  global
        .offset:         56
        .size:           8
        .value_kind:     global_buffer
      - .actual_access:  read_only
        .address_space:  global
        .offset:         64
        .size:           8
        .value_kind:     global_buffer
      - .offset:         72
        .size:           8
        .value_kind:     by_value
      - .offset:         80
        .size:           8
        .value_kind:     by_value
      - .offset:         88
        .size:           8
        .value_kind:     by_value
      - .address_space:  global
        .offset:         96
        .size:           8
        .value_kind:     global_buffer
      - .offset:         104
        .size:           8
        .value_kind:     by_value
      - .offset:         112
        .size:           8
        .value_kind:     by_value
      - .offset:         120
        .size:           4
        .value_kind:     by_value
      - .offset:         124
        .size:           4
        .value_kind:     by_value
      - .offset:         128
        .size:           1
        .value_kind:     by_value
      - .offset:         136
        .size:           4
        .value_kind:     hidden_block_count_x
      - .offset:         140
        .size:           4
        .value_kind:     hidden_block_count_y
      - .offset:         144
        .size:           4
        .value_kind:     hidden_block_count_z
      - .offset:         148
        .size:           2
        .value_kind:     hidden_group_size_x
      - .offset:         150
        .size:           2
        .value_kind:     hidden_group_size_y
      - .offset:         152
        .size:           2
        .value_kind:     hidden_group_size_z
      - .offset:         154
        .size:           2
        .value_kind:     hidden_remainder_x
      - .offset:         156
        .size:           2
        .value_kind:     hidden_remainder_y
      - .offset:         158
        .size:           2
        .value_kind:     hidden_remainder_z
      - .offset:         176
        .size:           8
        .value_kind:     hidden_global_offset_x
      - .offset:         184
        .size:           8
        .value_kind:     hidden_global_offset_y
      - .offset:         192
        .size:           8
        .value_kind:     hidden_global_offset_z
      - .offset:         200
        .size:           2
        .value_kind:     hidden_grid_dims
    .group_segment_fixed_size: 448
    .kernarg_segment_align: 8
    .kernarg_segment_size: 392
    .language:       OpenCL C
    .language_version:
      - 2
      - 0
    .max_flat_workgroup_size: 64
    .name:           _ZN9rocsparseL29bsrmmnn_small_blockdim_kernelILj64ELj8ELj2EliaaffEEv20rocsparse_direction_T3_S2_llNS_24const_host_device_scalarIT7_EEPKT2_PKS2_PKT4_PKT5_llS5_PT6_ll16rocsparse_order_21rocsparse_index_base_b
    .private_segment_fixed_size: 0
    .sgpr_count:     34
    .sgpr_spill_count: 0
    .symbol:         _ZN9rocsparseL29bsrmmnn_small_blockdim_kernelILj64ELj8ELj2EliaaffEEv20rocsparse_direction_T3_S2_llNS_24const_host_device_scalarIT7_EEPKT2_PKS2_PKT4_PKT5_llS5_PT6_ll16rocsparse_order_21rocsparse_index_base_b.kd
    .uniform_work_group_size: 1
    .uses_dynamic_stack: false
    .vgpr_count:     55
    .vgpr_spill_count: 0
    .wavefront_size: 64
  - .agpr_count:     0
    .args:
      - .offset:         0
        .size:           4
        .value_kind:     by_value
      - .offset:         8
        .size:           8
        .value_kind:     by_value
      - .offset:         16
        .size:           8
        .value_kind:     by_value
      - .offset:         24
        .size:           8
        .value_kind:     by_value
      - .offset:         32
        .size:           8
        .value_kind:     by_value
      - .offset:         40
        .size:           8
        .value_kind:     by_value
      - .actual_access:  read_only
        .address_space:  global
        .offset:         48
        .size:           8
        .value_kind:     global_buffer
      - .actual_access:  read_only
        .address_space:  global
        .offset:         56
        .size:           8
        .value_kind:     global_buffer
      - .actual_access:  read_only
        .address_space:  global
        .offset:         64
        .size:           8
        .value_kind:     global_buffer
      - .actual_access:  read_only
        .address_space:  global
        .offset:         72
        .size:           8
        .value_kind:     global_buffer
      - .offset:         80
        .size:           8
        .value_kind:     by_value
      - .offset:         88
        .size:           8
        .value_kind:     by_value
      - .offset:         96
        .size:           8
        .value_kind:     by_value
      - .address_space:  global
        .offset:         104
        .size:           8
        .value_kind:     global_buffer
      - .offset:         112
        .size:           8
        .value_kind:     by_value
      - .offset:         120
        .size:           8
        .value_kind:     by_value
      - .offset:         128
        .size:           4
        .value_kind:     by_value
      - .offset:         132
        .size:           4
        .value_kind:     by_value
      - .offset:         136
        .size:           1
        .value_kind:     by_value
      - .offset:         144
        .size:           4
        .value_kind:     hidden_block_count_x
      - .offset:         148
        .size:           4
        .value_kind:     hidden_block_count_y
      - .offset:         152
        .size:           4
        .value_kind:     hidden_block_count_z
      - .offset:         156
        .size:           2
        .value_kind:     hidden_group_size_x
      - .offset:         158
        .size:           2
        .value_kind:     hidden_group_size_y
      - .offset:         160
        .size:           2
        .value_kind:     hidden_group_size_z
      - .offset:         162
        .size:           2
        .value_kind:     hidden_remainder_x
      - .offset:         164
        .size:           2
        .value_kind:     hidden_remainder_y
      - .offset:         166
        .size:           2
        .value_kind:     hidden_remainder_z
      - .offset:         184
        .size:           8
        .value_kind:     hidden_global_offset_x
      - .offset:         192
        .size:           8
        .value_kind:     hidden_global_offset_y
      - .offset:         200
        .size:           8
        .value_kind:     hidden_global_offset_z
      - .offset:         208
        .size:           2
        .value_kind:     hidden_grid_dims
    .group_segment_fixed_size: 704
    .kernarg_segment_align: 8
    .kernarg_segment_size: 400
    .language:       OpenCL C
    .language_version:
      - 2
      - 0
    .max_flat_workgroup_size: 64
    .name:           _ZN9rocsparseL29bsrmmnn_small_blockdim_kernelILj64ELj8ELj2EllaaffEEv20rocsparse_direction_T3_S2_llNS_24const_host_device_scalarIT7_EEPKT2_PKS2_PKT4_PKT5_llS5_PT6_ll16rocsparse_order_21rocsparse_index_base_b
    .private_segment_fixed_size: 0
    .sgpr_count:     36
    .sgpr_spill_count: 0
    .symbol:         _ZN9rocsparseL29bsrmmnn_small_blockdim_kernelILj64ELj8ELj2EllaaffEEv20rocsparse_direction_T3_S2_llNS_24const_host_device_scalarIT7_EEPKT2_PKS2_PKT4_PKT5_llS5_PT6_ll16rocsparse_order_21rocsparse_index_base_b.kd
    .uniform_work_group_size: 1
    .uses_dynamic_stack: false
    .vgpr_count:     56
    .vgpr_spill_count: 0
    .wavefront_size: 64
  - .agpr_count:     0
    .args:
      - .offset:         0
        .size:           4
        .value_kind:     by_value
      - .offset:         4
        .size:           4
        .value_kind:     by_value
      - .offset:         8
        .size:           4
        .value_kind:     by_value
      - .offset:         16
        .size:           8
        .value_kind:     by_value
      - .offset:         24
        .size:           8
        .value_kind:     by_value
      - .offset:         32
        .size:           8
        .value_kind:     by_value
      - .actual_access:  read_only
        .address_space:  global
        .offset:         40
        .size:           8
        .value_kind:     global_buffer
      - .actual_access:  read_only
        .address_space:  global
        .offset:         48
        .size:           8
        .value_kind:     global_buffer
      - .actual_access:  read_only
        .address_space:  global
        .offset:         56
        .size:           8
        .value_kind:     global_buffer
      - .actual_access:  read_only
        .address_space:  global
        .offset:         64
        .size:           8
        .value_kind:     global_buffer
      - .offset:         72
        .size:           8
        .value_kind:     by_value
      - .offset:         80
        .size:           8
        .value_kind:     by_value
      - .offset:         88
        .size:           8
        .value_kind:     by_value
      - .address_space:  global
        .offset:         96
        .size:           8
        .value_kind:     global_buffer
      - .offset:         104
        .size:           8
        .value_kind:     by_value
      - .offset:         112
        .size:           8
        .value_kind:     by_value
      - .offset:         120
        .size:           4
        .value_kind:     by_value
      - .offset:         124
        .size:           4
        .value_kind:     by_value
      - .offset:         128
        .size:           1
        .value_kind:     by_value
      - .offset:         136
        .size:           4
        .value_kind:     hidden_block_count_x
      - .offset:         140
        .size:           4
        .value_kind:     hidden_block_count_y
      - .offset:         144
        .size:           4
        .value_kind:     hidden_block_count_z
      - .offset:         148
        .size:           2
        .value_kind:     hidden_group_size_x
      - .offset:         150
        .size:           2
        .value_kind:     hidden_group_size_y
      - .offset:         152
        .size:           2
        .value_kind:     hidden_group_size_z
      - .offset:         154
        .size:           2
        .value_kind:     hidden_remainder_x
      - .offset:         156
        .size:           2
        .value_kind:     hidden_remainder_y
      - .offset:         158
        .size:           2
        .value_kind:     hidden_remainder_z
      - .offset:         176
        .size:           8
        .value_kind:     hidden_global_offset_x
      - .offset:         184
        .size:           8
        .value_kind:     hidden_global_offset_y
      - .offset:         192
        .size:           8
        .value_kind:     hidden_global_offset_z
      - .offset:         200
        .size:           2
        .value_kind:     hidden_grid_dims
    .group_segment_fixed_size: 1024
    .kernarg_segment_align: 8
    .kernarg_segment_size: 392
    .language:       OpenCL C
    .language_version:
      - 2
      - 0
    .max_flat_workgroup_size: 64
    .name:           _ZN9rocsparseL29bsrmmnt_small_blockdim_kernelILj64ELj8ELj2EiiffffEEv20rocsparse_direction_T3_S2_llNS_24const_host_device_scalarIT7_EEPKT2_PKS2_PKT4_PKT5_llS5_PT6_ll16rocsparse_order_21rocsparse_index_base_b
    .private_segment_fixed_size: 0
    .sgpr_count:     36
    .sgpr_spill_count: 0
    .symbol:         _ZN9rocsparseL29bsrmmnt_small_blockdim_kernelILj64ELj8ELj2EiiffffEEv20rocsparse_direction_T3_S2_llNS_24const_host_device_scalarIT7_EEPKT2_PKS2_PKT4_PKT5_llS5_PT6_ll16rocsparse_order_21rocsparse_index_base_b.kd
    .uniform_work_group_size: 1
    .uses_dynamic_stack: false
    .vgpr_count:     37
    .vgpr_spill_count: 0
    .wavefront_size: 64
  - .agpr_count:     0
    .args:
      - .offset:         0
        .size:           4
        .value_kind:     by_value
      - .offset:         4
        .size:           4
        .value_kind:     by_value
      - .offset:         8
        .size:           4
        .value_kind:     by_value
      - .offset:         16
        .size:           8
        .value_kind:     by_value
      - .offset:         24
        .size:           8
        .value_kind:     by_value
      - .offset:         32
        .size:           8
        .value_kind:     by_value
      - .actual_access:  read_only
        .address_space:  global
        .offset:         40
        .size:           8
        .value_kind:     global_buffer
      - .actual_access:  read_only
        .address_space:  global
        .offset:         48
        .size:           8
        .value_kind:     global_buffer
      - .actual_access:  read_only
        .address_space:  global
        .offset:         56
        .size:           8
        .value_kind:     global_buffer
      - .actual_access:  read_only
        .address_space:  global
        .offset:         64
        .size:           8
        .value_kind:     global_buffer
      - .offset:         72
        .size:           8
        .value_kind:     by_value
      - .offset:         80
        .size:           8
        .value_kind:     by_value
      - .offset:         88
        .size:           8
        .value_kind:     by_value
      - .address_space:  global
        .offset:         96
        .size:           8
        .value_kind:     global_buffer
      - .offset:         104
        .size:           8
        .value_kind:     by_value
      - .offset:         112
        .size:           8
        .value_kind:     by_value
      - .offset:         120
        .size:           4
        .value_kind:     by_value
      - .offset:         124
        .size:           4
        .value_kind:     by_value
      - .offset:         128
        .size:           1
        .value_kind:     by_value
      - .offset:         136
        .size:           4
        .value_kind:     hidden_block_count_x
      - .offset:         140
        .size:           4
        .value_kind:     hidden_block_count_y
      - .offset:         144
        .size:           4
        .value_kind:     hidden_block_count_z
      - .offset:         148
        .size:           2
        .value_kind:     hidden_group_size_x
      - .offset:         150
        .size:           2
        .value_kind:     hidden_group_size_y
      - .offset:         152
        .size:           2
        .value_kind:     hidden_group_size_z
      - .offset:         154
        .size:           2
        .value_kind:     hidden_remainder_x
      - .offset:         156
        .size:           2
        .value_kind:     hidden_remainder_y
      - .offset:         158
        .size:           2
        .value_kind:     hidden_remainder_z
      - .offset:         176
        .size:           8
        .value_kind:     hidden_global_offset_x
      - .offset:         184
        .size:           8
        .value_kind:     hidden_global_offset_y
      - .offset:         192
        .size:           8
        .value_kind:     hidden_global_offset_z
      - .offset:         200
        .size:           2
        .value_kind:     hidden_grid_dims
    .group_segment_fixed_size: 1024
    .kernarg_segment_align: 8
    .kernarg_segment_size: 392
    .language:       OpenCL C
    .language_version:
      - 2
      - 0
    .max_flat_workgroup_size: 64
    .name:           _ZN9rocsparseL29bsrmmnt_small_blockdim_kernelILj64ELj16ELj2EiiffffEEv20rocsparse_direction_T3_S2_llNS_24const_host_device_scalarIT7_EEPKT2_PKS2_PKT4_PKT5_llS5_PT6_ll16rocsparse_order_21rocsparse_index_base_b
    .private_segment_fixed_size: 0
    .sgpr_count:     36
    .sgpr_spill_count: 0
    .symbol:         _ZN9rocsparseL29bsrmmnt_small_blockdim_kernelILj64ELj16ELj2EiiffffEEv20rocsparse_direction_T3_S2_llNS_24const_host_device_scalarIT7_EEPKT2_PKS2_PKT4_PKT5_llS5_PT6_ll16rocsparse_order_21rocsparse_index_base_b.kd
    .uniform_work_group_size: 1
    .uses_dynamic_stack: false
    .vgpr_count:     37
    .vgpr_spill_count: 0
    .wavefront_size: 64
  - .agpr_count:     0
    .args:
      - .offset:         0
        .size:           4
        .value_kind:     by_value
      - .offset:         4
        .size:           4
        .value_kind:     by_value
      - .offset:         8
        .size:           4
        .value_kind:     by_value
      - .offset:         16
        .size:           8
        .value_kind:     by_value
      - .offset:         24
        .size:           8
        .value_kind:     by_value
      - .offset:         32
        .size:           8
        .value_kind:     by_value
      - .actual_access:  read_only
        .address_space:  global
        .offset:         40
        .size:           8
        .value_kind:     global_buffer
      - .actual_access:  read_only
        .address_space:  global
        .offset:         48
        .size:           8
        .value_kind:     global_buffer
      - .actual_access:  read_only
        .address_space:  global
        .offset:         56
        .size:           8
        .value_kind:     global_buffer
      - .actual_access:  read_only
        .address_space:  global
        .offset:         64
        .size:           8
        .value_kind:     global_buffer
      - .offset:         72
        .size:           8
        .value_kind:     by_value
      - .offset:         80
        .size:           8
        .value_kind:     by_value
      - .offset:         88
        .size:           8
        .value_kind:     by_value
      - .address_space:  global
        .offset:         96
        .size:           8
        .value_kind:     global_buffer
      - .offset:         104
        .size:           8
        .value_kind:     by_value
      - .offset:         112
        .size:           8
        .value_kind:     by_value
      - .offset:         120
        .size:           4
        .value_kind:     by_value
      - .offset:         124
        .size:           4
        .value_kind:     by_value
      - .offset:         128
        .size:           1
        .value_kind:     by_value
      - .offset:         136
        .size:           4
        .value_kind:     hidden_block_count_x
      - .offset:         140
        .size:           4
        .value_kind:     hidden_block_count_y
      - .offset:         144
        .size:           4
        .value_kind:     hidden_block_count_z
      - .offset:         148
        .size:           2
        .value_kind:     hidden_group_size_x
      - .offset:         150
        .size:           2
        .value_kind:     hidden_group_size_y
      - .offset:         152
        .size:           2
        .value_kind:     hidden_group_size_z
      - .offset:         154
        .size:           2
        .value_kind:     hidden_remainder_x
      - .offset:         156
        .size:           2
        .value_kind:     hidden_remainder_y
      - .offset:         158
        .size:           2
        .value_kind:     hidden_remainder_z
      - .offset:         176
        .size:           8
        .value_kind:     hidden_global_offset_x
      - .offset:         184
        .size:           8
        .value_kind:     hidden_global_offset_y
      - .offset:         192
        .size:           8
        .value_kind:     hidden_global_offset_z
      - .offset:         200
        .size:           2
        .value_kind:     hidden_grid_dims
    .group_segment_fixed_size: 1024
    .kernarg_segment_align: 8
    .kernarg_segment_size: 392
    .language:       OpenCL C
    .language_version:
      - 2
      - 0
    .max_flat_workgroup_size: 64
    .name:           _ZN9rocsparseL29bsrmmnt_small_blockdim_kernelILj64ELj32ELj2EiiffffEEv20rocsparse_direction_T3_S2_llNS_24const_host_device_scalarIT7_EEPKT2_PKS2_PKT4_PKT5_llS5_PT6_ll16rocsparse_order_21rocsparse_index_base_b
    .private_segment_fixed_size: 0
    .sgpr_count:     36
    .sgpr_spill_count: 0
    .symbol:         _ZN9rocsparseL29bsrmmnt_small_blockdim_kernelILj64ELj32ELj2EiiffffEEv20rocsparse_direction_T3_S2_llNS_24const_host_device_scalarIT7_EEPKT2_PKS2_PKT4_PKT5_llS5_PT6_ll16rocsparse_order_21rocsparse_index_base_b.kd
    .uniform_work_group_size: 1
    .uses_dynamic_stack: false
    .vgpr_count:     37
    .vgpr_spill_count: 0
    .wavefront_size: 64
  - .agpr_count:     0
    .args:
      - .offset:         0
        .size:           4
        .value_kind:     by_value
      - .offset:         4
        .size:           4
        .value_kind:     by_value
      - .offset:         8
        .size:           4
        .value_kind:     by_value
      - .offset:         16
        .size:           8
        .value_kind:     by_value
      - .offset:         24
        .size:           8
        .value_kind:     by_value
      - .offset:         32
        .size:           8
        .value_kind:     by_value
      - .actual_access:  read_only
        .address_space:  global
        .offset:         40
        .size:           8
        .value_kind:     global_buffer
      - .actual_access:  read_only
        .address_space:  global
        .offset:         48
        .size:           8
        .value_kind:     global_buffer
      - .actual_access:  read_only
        .address_space:  global
        .offset:         56
        .size:           8
        .value_kind:     global_buffer
      - .actual_access:  read_only
        .address_space:  global
        .offset:         64
        .size:           8
        .value_kind:     global_buffer
      - .offset:         72
        .size:           8
        .value_kind:     by_value
      - .offset:         80
        .size:           8
        .value_kind:     by_value
      - .offset:         88
        .size:           8
        .value_kind:     by_value
      - .address_space:  global
        .offset:         96
        .size:           8
        .value_kind:     global_buffer
      - .offset:         104
        .size:           8
        .value_kind:     by_value
      - .offset:         112
        .size:           8
        .value_kind:     by_value
      - .offset:         120
        .size:           4
        .value_kind:     by_value
      - .offset:         124
        .size:           4
        .value_kind:     by_value
      - .offset:         128
        .size:           1
        .value_kind:     by_value
      - .offset:         136
        .size:           4
        .value_kind:     hidden_block_count_x
      - .offset:         140
        .size:           4
        .value_kind:     hidden_block_count_y
      - .offset:         144
        .size:           4
        .value_kind:     hidden_block_count_z
      - .offset:         148
        .size:           2
        .value_kind:     hidden_group_size_x
      - .offset:         150
        .size:           2
        .value_kind:     hidden_group_size_y
      - .offset:         152
        .size:           2
        .value_kind:     hidden_group_size_z
      - .offset:         154
        .size:           2
        .value_kind:     hidden_remainder_x
      - .offset:         156
        .size:           2
        .value_kind:     hidden_remainder_y
      - .offset:         158
        .size:           2
        .value_kind:     hidden_remainder_z
      - .offset:         176
        .size:           8
        .value_kind:     hidden_global_offset_x
      - .offset:         184
        .size:           8
        .value_kind:     hidden_global_offset_y
      - .offset:         192
        .size:           8
        .value_kind:     hidden_global_offset_z
      - .offset:         200
        .size:           2
        .value_kind:     hidden_grid_dims
    .group_segment_fixed_size: 1024
    .kernarg_segment_align: 8
    .kernarg_segment_size: 392
    .language:       OpenCL C
    .language_version:
      - 2
      - 0
    .max_flat_workgroup_size: 64
    .name:           _ZN9rocsparseL29bsrmmnt_small_blockdim_kernelILj64ELj64ELj2EiiffffEEv20rocsparse_direction_T3_S2_llNS_24const_host_device_scalarIT7_EEPKT2_PKS2_PKT4_PKT5_llS5_PT6_ll16rocsparse_order_21rocsparse_index_base_b
    .private_segment_fixed_size: 0
    .sgpr_count:     36
    .sgpr_spill_count: 0
    .symbol:         _ZN9rocsparseL29bsrmmnt_small_blockdim_kernelILj64ELj64ELj2EiiffffEEv20rocsparse_direction_T3_S2_llNS_24const_host_device_scalarIT7_EEPKT2_PKS2_PKT4_PKT5_llS5_PT6_ll16rocsparse_order_21rocsparse_index_base_b.kd
    .uniform_work_group_size: 1
    .uses_dynamic_stack: false
    .vgpr_count:     35
    .vgpr_spill_count: 0
    .wavefront_size: 64
  - .agpr_count:     0
    .args:
      - .offset:         0
        .size:           4
        .value_kind:     by_value
      - .offset:         4
        .size:           4
        .value_kind:     by_value
      - .offset:         8
        .size:           4
        .value_kind:     by_value
      - .offset:         16
        .size:           8
        .value_kind:     by_value
      - .offset:         24
        .size:           8
        .value_kind:     by_value
      - .offset:         32
        .size:           8
        .value_kind:     by_value
      - .actual_access:  read_only
        .address_space:  global
        .offset:         40
        .size:           8
        .value_kind:     global_buffer
      - .actual_access:  read_only
        .address_space:  global
        .offset:         48
        .size:           8
        .value_kind:     global_buffer
      - .actual_access:  read_only
        .address_space:  global
        .offset:         56
        .size:           8
        .value_kind:     global_buffer
      - .actual_access:  read_only
        .address_space:  global
        .offset:         64
        .size:           8
        .value_kind:     global_buffer
      - .offset:         72
        .size:           8
        .value_kind:     by_value
      - .offset:         80
        .size:           8
        .value_kind:     by_value
      - .offset:         88
        .size:           8
        .value_kind:     by_value
      - .address_space:  global
        .offset:         96
        .size:           8
        .value_kind:     global_buffer
      - .offset:         104
        .size:           8
        .value_kind:     by_value
      - .offset:         112
        .size:           8
        .value_kind:     by_value
      - .offset:         120
        .size:           4
        .value_kind:     by_value
      - .offset:         124
        .size:           4
        .value_kind:     by_value
      - .offset:         128
        .size:           1
        .value_kind:     by_value
      - .offset:         136
        .size:           4
        .value_kind:     hidden_block_count_x
      - .offset:         140
        .size:           4
        .value_kind:     hidden_block_count_y
      - .offset:         144
        .size:           4
        .value_kind:     hidden_block_count_z
      - .offset:         148
        .size:           2
        .value_kind:     hidden_group_size_x
      - .offset:         150
        .size:           2
        .value_kind:     hidden_group_size_y
      - .offset:         152
        .size:           2
        .value_kind:     hidden_group_size_z
      - .offset:         154
        .size:           2
        .value_kind:     hidden_remainder_x
      - .offset:         156
        .size:           2
        .value_kind:     hidden_remainder_y
      - .offset:         158
        .size:           2
        .value_kind:     hidden_remainder_z
      - .offset:         176
        .size:           8
        .value_kind:     hidden_global_offset_x
      - .offset:         184
        .size:           8
        .value_kind:     hidden_global_offset_y
      - .offset:         192
        .size:           8
        .value_kind:     hidden_global_offset_z
      - .offset:         200
        .size:           2
        .value_kind:     hidden_grid_dims
    .group_segment_fixed_size: 1024
    .kernarg_segment_align: 8
    .kernarg_segment_size: 392
    .language:       OpenCL C
    .language_version:
      - 2
      - 0
    .max_flat_workgroup_size: 64
    .name:           _ZN9rocsparseL29bsrmmnt_small_blockdim_kernelILj64ELj8ELj2EliffffEEv20rocsparse_direction_T3_S2_llNS_24const_host_device_scalarIT7_EEPKT2_PKS2_PKT4_PKT5_llS5_PT6_ll16rocsparse_order_21rocsparse_index_base_b
    .private_segment_fixed_size: 0
    .sgpr_count:     36
    .sgpr_spill_count: 0
    .symbol:         _ZN9rocsparseL29bsrmmnt_small_blockdim_kernelILj64ELj8ELj2EliffffEEv20rocsparse_direction_T3_S2_llNS_24const_host_device_scalarIT7_EEPKT2_PKS2_PKT4_PKT5_llS5_PT6_ll16rocsparse_order_21rocsparse_index_base_b.kd
    .uniform_work_group_size: 1
    .uses_dynamic_stack: false
    .vgpr_count:     38
    .vgpr_spill_count: 0
    .wavefront_size: 64
  - .agpr_count:     0
    .args:
      - .offset:         0
        .size:           4
        .value_kind:     by_value
      - .offset:         4
        .size:           4
        .value_kind:     by_value
      - .offset:         8
        .size:           4
        .value_kind:     by_value
      - .offset:         16
        .size:           8
        .value_kind:     by_value
      - .offset:         24
        .size:           8
        .value_kind:     by_value
      - .offset:         32
        .size:           8
        .value_kind:     by_value
      - .actual_access:  read_only
        .address_space:  global
        .offset:         40
        .size:           8
        .value_kind:     global_buffer
      - .actual_access:  read_only
        .address_space:  global
        .offset:         48
        .size:           8
        .value_kind:     global_buffer
      - .actual_access:  read_only
        .address_space:  global
        .offset:         56
        .size:           8
        .value_kind:     global_buffer
      - .actual_access:  read_only
        .address_space:  global
        .offset:         64
        .size:           8
        .value_kind:     global_buffer
      - .offset:         72
        .size:           8
        .value_kind:     by_value
      - .offset:         80
        .size:           8
        .value_kind:     by_value
      - .offset:         88
        .size:           8
        .value_kind:     by_value
      - .address_space:  global
        .offset:         96
        .size:           8
        .value_kind:     global_buffer
      - .offset:         104
        .size:           8
        .value_kind:     by_value
      - .offset:         112
        .size:           8
        .value_kind:     by_value
      - .offset:         120
        .size:           4
        .value_kind:     by_value
      - .offset:         124
        .size:           4
        .value_kind:     by_value
      - .offset:         128
        .size:           1
        .value_kind:     by_value
      - .offset:         136
        .size:           4
        .value_kind:     hidden_block_count_x
      - .offset:         140
        .size:           4
        .value_kind:     hidden_block_count_y
      - .offset:         144
        .size:           4
        .value_kind:     hidden_block_count_z
      - .offset:         148
        .size:           2
        .value_kind:     hidden_group_size_x
      - .offset:         150
        .size:           2
        .value_kind:     hidden_group_size_y
      - .offset:         152
        .size:           2
        .value_kind:     hidden_group_size_z
      - .offset:         154
        .size:           2
        .value_kind:     hidden_remainder_x
      - .offset:         156
        .size:           2
        .value_kind:     hidden_remainder_y
      - .offset:         158
        .size:           2
        .value_kind:     hidden_remainder_z
      - .offset:         176
        .size:           8
        .value_kind:     hidden_global_offset_x
      - .offset:         184
        .size:           8
        .value_kind:     hidden_global_offset_y
      - .offset:         192
        .size:           8
        .value_kind:     hidden_global_offset_z
      - .offset:         200
        .size:           2
        .value_kind:     hidden_grid_dims
    .group_segment_fixed_size: 1024
    .kernarg_segment_align: 8
    .kernarg_segment_size: 392
    .language:       OpenCL C
    .language_version:
      - 2
      - 0
    .max_flat_workgroup_size: 64
    .name:           _ZN9rocsparseL29bsrmmnt_small_blockdim_kernelILj64ELj16ELj2EliffffEEv20rocsparse_direction_T3_S2_llNS_24const_host_device_scalarIT7_EEPKT2_PKS2_PKT4_PKT5_llS5_PT6_ll16rocsparse_order_21rocsparse_index_base_b
    .private_segment_fixed_size: 0
    .sgpr_count:     36
    .sgpr_spill_count: 0
    .symbol:         _ZN9rocsparseL29bsrmmnt_small_blockdim_kernelILj64ELj16ELj2EliffffEEv20rocsparse_direction_T3_S2_llNS_24const_host_device_scalarIT7_EEPKT2_PKS2_PKT4_PKT5_llS5_PT6_ll16rocsparse_order_21rocsparse_index_base_b.kd
    .uniform_work_group_size: 1
    .uses_dynamic_stack: false
    .vgpr_count:     38
    .vgpr_spill_count: 0
    .wavefront_size: 64
  - .agpr_count:     0
    .args:
      - .offset:         0
        .size:           4
        .value_kind:     by_value
      - .offset:         4
        .size:           4
        .value_kind:     by_value
      - .offset:         8
        .size:           4
        .value_kind:     by_value
      - .offset:         16
        .size:           8
        .value_kind:     by_value
      - .offset:         24
        .size:           8
        .value_kind:     by_value
      - .offset:         32
        .size:           8
        .value_kind:     by_value
      - .actual_access:  read_only
        .address_space:  global
        .offset:         40
        .size:           8
        .value_kind:     global_buffer
      - .actual_access:  read_only
        .address_space:  global
        .offset:         48
        .size:           8
        .value_kind:     global_buffer
      - .actual_access:  read_only
        .address_space:  global
        .offset:         56
        .size:           8
        .value_kind:     global_buffer
      - .actual_access:  read_only
        .address_space:  global
        .offset:         64
        .size:           8
        .value_kind:     global_buffer
      - .offset:         72
        .size:           8
        .value_kind:     by_value
      - .offset:         80
        .size:           8
        .value_kind:     by_value
      - .offset:         88
        .size:           8
        .value_kind:     by_value
      - .address_space:  global
        .offset:         96
        .size:           8
        .value_kind:     global_buffer
      - .offset:         104
        .size:           8
        .value_kind:     by_value
      - .offset:         112
        .size:           8
        .value_kind:     by_value
      - .offset:         120
        .size:           4
        .value_kind:     by_value
      - .offset:         124
        .size:           4
        .value_kind:     by_value
      - .offset:         128
        .size:           1
        .value_kind:     by_value
      - .offset:         136
        .size:           4
        .value_kind:     hidden_block_count_x
      - .offset:         140
        .size:           4
        .value_kind:     hidden_block_count_y
      - .offset:         144
        .size:           4
        .value_kind:     hidden_block_count_z
      - .offset:         148
        .size:           2
        .value_kind:     hidden_group_size_x
      - .offset:         150
        .size:           2
        .value_kind:     hidden_group_size_y
      - .offset:         152
        .size:           2
        .value_kind:     hidden_group_size_z
      - .offset:         154
        .size:           2
        .value_kind:     hidden_remainder_x
      - .offset:         156
        .size:           2
        .value_kind:     hidden_remainder_y
      - .offset:         158
        .size:           2
        .value_kind:     hidden_remainder_z
      - .offset:         176
        .size:           8
        .value_kind:     hidden_global_offset_x
      - .offset:         184
        .size:           8
        .value_kind:     hidden_global_offset_y
      - .offset:         192
        .size:           8
        .value_kind:     hidden_global_offset_z
      - .offset:         200
        .size:           2
        .value_kind:     hidden_grid_dims
    .group_segment_fixed_size: 1024
    .kernarg_segment_align: 8
    .kernarg_segment_size: 392
    .language:       OpenCL C
    .language_version:
      - 2
      - 0
    .max_flat_workgroup_size: 64
    .name:           _ZN9rocsparseL29bsrmmnt_small_blockdim_kernelILj64ELj32ELj2EliffffEEv20rocsparse_direction_T3_S2_llNS_24const_host_device_scalarIT7_EEPKT2_PKS2_PKT4_PKT5_llS5_PT6_ll16rocsparse_order_21rocsparse_index_base_b
    .private_segment_fixed_size: 0
    .sgpr_count:     36
    .sgpr_spill_count: 0
    .symbol:         _ZN9rocsparseL29bsrmmnt_small_blockdim_kernelILj64ELj32ELj2EliffffEEv20rocsparse_direction_T3_S2_llNS_24const_host_device_scalarIT7_EEPKT2_PKS2_PKT4_PKT5_llS5_PT6_ll16rocsparse_order_21rocsparse_index_base_b.kd
    .uniform_work_group_size: 1
    .uses_dynamic_stack: false
    .vgpr_count:     38
    .vgpr_spill_count: 0
    .wavefront_size: 64
  - .agpr_count:     0
    .args:
      - .offset:         0
        .size:           4
        .value_kind:     by_value
      - .offset:         4
        .size:           4
        .value_kind:     by_value
      - .offset:         8
        .size:           4
        .value_kind:     by_value
      - .offset:         16
        .size:           8
        .value_kind:     by_value
      - .offset:         24
        .size:           8
        .value_kind:     by_value
      - .offset:         32
        .size:           8
        .value_kind:     by_value
      - .actual_access:  read_only
        .address_space:  global
        .offset:         40
        .size:           8
        .value_kind:     global_buffer
      - .actual_access:  read_only
        .address_space:  global
        .offset:         48
        .size:           8
        .value_kind:     global_buffer
      - .actual_access:  read_only
        .address_space:  global
        .offset:         56
        .size:           8
        .value_kind:     global_buffer
      - .actual_access:  read_only
        .address_space:  global
        .offset:         64
        .size:           8
        .value_kind:     global_buffer
      - .offset:         72
        .size:           8
        .value_kind:     by_value
      - .offset:         80
        .size:           8
        .value_kind:     by_value
      - .offset:         88
        .size:           8
        .value_kind:     by_value
      - .address_space:  global
        .offset:         96
        .size:           8
        .value_kind:     global_buffer
      - .offset:         104
        .size:           8
        .value_kind:     by_value
      - .offset:         112
        .size:           8
        .value_kind:     by_value
      - .offset:         120
        .size:           4
        .value_kind:     by_value
      - .offset:         124
        .size:           4
        .value_kind:     by_value
      - .offset:         128
        .size:           1
        .value_kind:     by_value
      - .offset:         136
        .size:           4
        .value_kind:     hidden_block_count_x
      - .offset:         140
        .size:           4
        .value_kind:     hidden_block_count_y
      - .offset:         144
        .size:           4
        .value_kind:     hidden_block_count_z
      - .offset:         148
        .size:           2
        .value_kind:     hidden_group_size_x
      - .offset:         150
        .size:           2
        .value_kind:     hidden_group_size_y
      - .offset:         152
        .size:           2
        .value_kind:     hidden_group_size_z
      - .offset:         154
        .size:           2
        .value_kind:     hidden_remainder_x
      - .offset:         156
        .size:           2
        .value_kind:     hidden_remainder_y
      - .offset:         158
        .size:           2
        .value_kind:     hidden_remainder_z
      - .offset:         176
        .size:           8
        .value_kind:     hidden_global_offset_x
      - .offset:         184
        .size:           8
        .value_kind:     hidden_global_offset_y
      - .offset:         192
        .size:           8
        .value_kind:     hidden_global_offset_z
      - .offset:         200
        .size:           2
        .value_kind:     hidden_grid_dims
    .group_segment_fixed_size: 1024
    .kernarg_segment_align: 8
    .kernarg_segment_size: 392
    .language:       OpenCL C
    .language_version:
      - 2
      - 0
    .max_flat_workgroup_size: 64
    .name:           _ZN9rocsparseL29bsrmmnt_small_blockdim_kernelILj64ELj64ELj2EliffffEEv20rocsparse_direction_T3_S2_llNS_24const_host_device_scalarIT7_EEPKT2_PKS2_PKT4_PKT5_llS5_PT6_ll16rocsparse_order_21rocsparse_index_base_b
    .private_segment_fixed_size: 0
    .sgpr_count:     36
    .sgpr_spill_count: 0
    .symbol:         _ZN9rocsparseL29bsrmmnt_small_blockdim_kernelILj64ELj64ELj2EliffffEEv20rocsparse_direction_T3_S2_llNS_24const_host_device_scalarIT7_EEPKT2_PKS2_PKT4_PKT5_llS5_PT6_ll16rocsparse_order_21rocsparse_index_base_b.kd
    .uniform_work_group_size: 1
    .uses_dynamic_stack: false
    .vgpr_count:     37
    .vgpr_spill_count: 0
    .wavefront_size: 64
  - .agpr_count:     0
    .args:
      - .offset:         0
        .size:           4
        .value_kind:     by_value
      - .offset:         8
        .size:           8
        .value_kind:     by_value
      - .offset:         16
        .size:           8
        .value_kind:     by_value
      - .offset:         24
        .size:           8
        .value_kind:     by_value
      - .offset:         32
        .size:           8
        .value_kind:     by_value
      - .offset:         40
        .size:           8
        .value_kind:     by_value
      - .actual_access:  read_only
        .address_space:  global
        .offset:         48
        .size:           8
        .value_kind:     global_buffer
      - .actual_access:  read_only
        .address_space:  global
        .offset:         56
        .size:           8
        .value_kind:     global_buffer
      - .actual_access:  read_only
        .address_space:  global
        .offset:         64
        .size:           8
        .value_kind:     global_buffer
      - .actual_access:  read_only
        .address_space:  global
        .offset:         72
        .size:           8
        .value_kind:     global_buffer
      - .offset:         80
        .size:           8
        .value_kind:     by_value
      - .offset:         88
        .size:           8
        .value_kind:     by_value
      - .offset:         96
        .size:           8
        .value_kind:     by_value
      - .address_space:  global
        .offset:         104
        .size:           8
        .value_kind:     global_buffer
      - .offset:         112
        .size:           8
        .value_kind:     by_value
      - .offset:         120
        .size:           8
        .value_kind:     by_value
      - .offset:         128
        .size:           4
        .value_kind:     by_value
      - .offset:         132
        .size:           4
        .value_kind:     by_value
      - .offset:         136
        .size:           1
        .value_kind:     by_value
      - .offset:         144
        .size:           4
        .value_kind:     hidden_block_count_x
      - .offset:         148
        .size:           4
        .value_kind:     hidden_block_count_y
      - .offset:         152
        .size:           4
        .value_kind:     hidden_block_count_z
      - .offset:         156
        .size:           2
        .value_kind:     hidden_group_size_x
      - .offset:         158
        .size:           2
        .value_kind:     hidden_group_size_y
      - .offset:         160
        .size:           2
        .value_kind:     hidden_group_size_z
      - .offset:         162
        .size:           2
        .value_kind:     hidden_remainder_x
      - .offset:         164
        .size:           2
        .value_kind:     hidden_remainder_y
      - .offset:         166
        .size:           2
        .value_kind:     hidden_remainder_z
      - .offset:         184
        .size:           8
        .value_kind:     hidden_global_offset_x
      - .offset:         192
        .size:           8
        .value_kind:     hidden_global_offset_y
      - .offset:         200
        .size:           8
        .value_kind:     hidden_global_offset_z
      - .offset:         208
        .size:           2
        .value_kind:     hidden_grid_dims
    .group_segment_fixed_size: 1280
    .kernarg_segment_align: 8
    .kernarg_segment_size: 400
    .language:       OpenCL C
    .language_version:
      - 2
      - 0
    .max_flat_workgroup_size: 64
    .name:           _ZN9rocsparseL29bsrmmnt_small_blockdim_kernelILj64ELj8ELj2EllffffEEv20rocsparse_direction_T3_S2_llNS_24const_host_device_scalarIT7_EEPKT2_PKS2_PKT4_PKT5_llS5_PT6_ll16rocsparse_order_21rocsparse_index_base_b
    .private_segment_fixed_size: 0
    .sgpr_count:     42
    .sgpr_spill_count: 0
    .symbol:         _ZN9rocsparseL29bsrmmnt_small_blockdim_kernelILj64ELj8ELj2EllffffEEv20rocsparse_direction_T3_S2_llNS_24const_host_device_scalarIT7_EEPKT2_PKS2_PKT4_PKT5_llS5_PT6_ll16rocsparse_order_21rocsparse_index_base_b.kd
    .uniform_work_group_size: 1
    .uses_dynamic_stack: false
    .vgpr_count:     35
    .vgpr_spill_count: 0
    .wavefront_size: 64
  - .agpr_count:     0
    .args:
      - .offset:         0
        .size:           4
        .value_kind:     by_value
      - .offset:         8
        .size:           8
        .value_kind:     by_value
      - .offset:         16
        .size:           8
        .value_kind:     by_value
      - .offset:         24
        .size:           8
        .value_kind:     by_value
      - .offset:         32
        .size:           8
        .value_kind:     by_value
      - .offset:         40
        .size:           8
        .value_kind:     by_value
      - .actual_access:  read_only
        .address_space:  global
        .offset:         48
        .size:           8
        .value_kind:     global_buffer
      - .actual_access:  read_only
        .address_space:  global
        .offset:         56
        .size:           8
        .value_kind:     global_buffer
      - .actual_access:  read_only
        .address_space:  global
        .offset:         64
        .size:           8
        .value_kind:     global_buffer
      - .actual_access:  read_only
        .address_space:  global
        .offset:         72
        .size:           8
        .value_kind:     global_buffer
      - .offset:         80
        .size:           8
        .value_kind:     by_value
      - .offset:         88
        .size:           8
        .value_kind:     by_value
      - .offset:         96
        .size:           8
        .value_kind:     by_value
      - .address_space:  global
        .offset:         104
        .size:           8
        .value_kind:     global_buffer
      - .offset:         112
        .size:           8
        .value_kind:     by_value
      - .offset:         120
        .size:           8
        .value_kind:     by_value
      - .offset:         128
        .size:           4
        .value_kind:     by_value
      - .offset:         132
        .size:           4
        .value_kind:     by_value
      - .offset:         136
        .size:           1
        .value_kind:     by_value
      - .offset:         144
        .size:           4
        .value_kind:     hidden_block_count_x
      - .offset:         148
        .size:           4
        .value_kind:     hidden_block_count_y
      - .offset:         152
        .size:           4
        .value_kind:     hidden_block_count_z
      - .offset:         156
        .size:           2
        .value_kind:     hidden_group_size_x
      - .offset:         158
        .size:           2
        .value_kind:     hidden_group_size_y
      - .offset:         160
        .size:           2
        .value_kind:     hidden_group_size_z
      - .offset:         162
        .size:           2
        .value_kind:     hidden_remainder_x
      - .offset:         164
        .size:           2
        .value_kind:     hidden_remainder_y
      - .offset:         166
        .size:           2
        .value_kind:     hidden_remainder_z
      - .offset:         184
        .size:           8
        .value_kind:     hidden_global_offset_x
      - .offset:         192
        .size:           8
        .value_kind:     hidden_global_offset_y
      - .offset:         200
        .size:           8
        .value_kind:     hidden_global_offset_z
      - .offset:         208
        .size:           2
        .value_kind:     hidden_grid_dims
    .group_segment_fixed_size: 1280
    .kernarg_segment_align: 8
    .kernarg_segment_size: 400
    .language:       OpenCL C
    .language_version:
      - 2
      - 0
    .max_flat_workgroup_size: 64
    .name:           _ZN9rocsparseL29bsrmmnt_small_blockdim_kernelILj64ELj16ELj2EllffffEEv20rocsparse_direction_T3_S2_llNS_24const_host_device_scalarIT7_EEPKT2_PKS2_PKT4_PKT5_llS5_PT6_ll16rocsparse_order_21rocsparse_index_base_b
    .private_segment_fixed_size: 0
    .sgpr_count:     42
    .sgpr_spill_count: 0
    .symbol:         _ZN9rocsparseL29bsrmmnt_small_blockdim_kernelILj64ELj16ELj2EllffffEEv20rocsparse_direction_T3_S2_llNS_24const_host_device_scalarIT7_EEPKT2_PKS2_PKT4_PKT5_llS5_PT6_ll16rocsparse_order_21rocsparse_index_base_b.kd
    .uniform_work_group_size: 1
    .uses_dynamic_stack: false
    .vgpr_count:     35
    .vgpr_spill_count: 0
    .wavefront_size: 64
  - .agpr_count:     0
    .args:
      - .offset:         0
        .size:           4
        .value_kind:     by_value
      - .offset:         8
        .size:           8
        .value_kind:     by_value
      - .offset:         16
        .size:           8
        .value_kind:     by_value
      - .offset:         24
        .size:           8
        .value_kind:     by_value
      - .offset:         32
        .size:           8
        .value_kind:     by_value
      - .offset:         40
        .size:           8
        .value_kind:     by_value
      - .actual_access:  read_only
        .address_space:  global
        .offset:         48
        .size:           8
        .value_kind:     global_buffer
      - .actual_access:  read_only
        .address_space:  global
        .offset:         56
        .size:           8
        .value_kind:     global_buffer
      - .actual_access:  read_only
        .address_space:  global
        .offset:         64
        .size:           8
        .value_kind:     global_buffer
      - .actual_access:  read_only
        .address_space:  global
        .offset:         72
        .size:           8
        .value_kind:     global_buffer
      - .offset:         80
        .size:           8
        .value_kind:     by_value
      - .offset:         88
        .size:           8
        .value_kind:     by_value
      - .offset:         96
        .size:           8
        .value_kind:     by_value
      - .address_space:  global
        .offset:         104
        .size:           8
        .value_kind:     global_buffer
      - .offset:         112
        .size:           8
        .value_kind:     by_value
      - .offset:         120
        .size:           8
        .value_kind:     by_value
      - .offset:         128
        .size:           4
        .value_kind:     by_value
      - .offset:         132
        .size:           4
        .value_kind:     by_value
      - .offset:         136
        .size:           1
        .value_kind:     by_value
      - .offset:         144
        .size:           4
        .value_kind:     hidden_block_count_x
      - .offset:         148
        .size:           4
        .value_kind:     hidden_block_count_y
      - .offset:         152
        .size:           4
        .value_kind:     hidden_block_count_z
      - .offset:         156
        .size:           2
        .value_kind:     hidden_group_size_x
      - .offset:         158
        .size:           2
        .value_kind:     hidden_group_size_y
      - .offset:         160
        .size:           2
        .value_kind:     hidden_group_size_z
      - .offset:         162
        .size:           2
        .value_kind:     hidden_remainder_x
      - .offset:         164
        .size:           2
        .value_kind:     hidden_remainder_y
      - .offset:         166
        .size:           2
        .value_kind:     hidden_remainder_z
      - .offset:         184
        .size:           8
        .value_kind:     hidden_global_offset_x
      - .offset:         192
        .size:           8
        .value_kind:     hidden_global_offset_y
      - .offset:         200
        .size:           8
        .value_kind:     hidden_global_offset_z
      - .offset:         208
        .size:           2
        .value_kind:     hidden_grid_dims
    .group_segment_fixed_size: 1280
    .kernarg_segment_align: 8
    .kernarg_segment_size: 400
    .language:       OpenCL C
    .language_version:
      - 2
      - 0
    .max_flat_workgroup_size: 64
    .name:           _ZN9rocsparseL29bsrmmnt_small_blockdim_kernelILj64ELj32ELj2EllffffEEv20rocsparse_direction_T3_S2_llNS_24const_host_device_scalarIT7_EEPKT2_PKS2_PKT4_PKT5_llS5_PT6_ll16rocsparse_order_21rocsparse_index_base_b
    .private_segment_fixed_size: 0
    .sgpr_count:     42
    .sgpr_spill_count: 0
    .symbol:         _ZN9rocsparseL29bsrmmnt_small_blockdim_kernelILj64ELj32ELj2EllffffEEv20rocsparse_direction_T3_S2_llNS_24const_host_device_scalarIT7_EEPKT2_PKS2_PKT4_PKT5_llS5_PT6_ll16rocsparse_order_21rocsparse_index_base_b.kd
    .uniform_work_group_size: 1
    .uses_dynamic_stack: false
    .vgpr_count:     35
    .vgpr_spill_count: 0
    .wavefront_size: 64
  - .agpr_count:     0
    .args:
      - .offset:         0
        .size:           4
        .value_kind:     by_value
      - .offset:         8
        .size:           8
        .value_kind:     by_value
      - .offset:         16
        .size:           8
        .value_kind:     by_value
      - .offset:         24
        .size:           8
        .value_kind:     by_value
      - .offset:         32
        .size:           8
        .value_kind:     by_value
      - .offset:         40
        .size:           8
        .value_kind:     by_value
      - .actual_access:  read_only
        .address_space:  global
        .offset:         48
        .size:           8
        .value_kind:     global_buffer
      - .actual_access:  read_only
        .address_space:  global
        .offset:         56
        .size:           8
        .value_kind:     global_buffer
      - .actual_access:  read_only
        .address_space:  global
        .offset:         64
        .size:           8
        .value_kind:     global_buffer
      - .actual_access:  read_only
        .address_space:  global
        .offset:         72
        .size:           8
        .value_kind:     global_buffer
      - .offset:         80
        .size:           8
        .value_kind:     by_value
      - .offset:         88
        .size:           8
        .value_kind:     by_value
      - .offset:         96
        .size:           8
        .value_kind:     by_value
      - .address_space:  global
        .offset:         104
        .size:           8
        .value_kind:     global_buffer
      - .offset:         112
        .size:           8
        .value_kind:     by_value
      - .offset:         120
        .size:           8
        .value_kind:     by_value
      - .offset:         128
        .size:           4
        .value_kind:     by_value
      - .offset:         132
        .size:           4
        .value_kind:     by_value
      - .offset:         136
        .size:           1
        .value_kind:     by_value
      - .offset:         144
        .size:           4
        .value_kind:     hidden_block_count_x
      - .offset:         148
        .size:           4
        .value_kind:     hidden_block_count_y
      - .offset:         152
        .size:           4
        .value_kind:     hidden_block_count_z
      - .offset:         156
        .size:           2
        .value_kind:     hidden_group_size_x
      - .offset:         158
        .size:           2
        .value_kind:     hidden_group_size_y
      - .offset:         160
        .size:           2
        .value_kind:     hidden_group_size_z
      - .offset:         162
        .size:           2
        .value_kind:     hidden_remainder_x
      - .offset:         164
        .size:           2
        .value_kind:     hidden_remainder_y
      - .offset:         166
        .size:           2
        .value_kind:     hidden_remainder_z
      - .offset:         184
        .size:           8
        .value_kind:     hidden_global_offset_x
      - .offset:         192
        .size:           8
        .value_kind:     hidden_global_offset_y
      - .offset:         200
        .size:           8
        .value_kind:     hidden_global_offset_z
      - .offset:         208
        .size:           2
        .value_kind:     hidden_grid_dims
    .group_segment_fixed_size: 1280
    .kernarg_segment_align: 8
    .kernarg_segment_size: 400
    .language:       OpenCL C
    .language_version:
      - 2
      - 0
    .max_flat_workgroup_size: 64
    .name:           _ZN9rocsparseL29bsrmmnt_small_blockdim_kernelILj64ELj64ELj2EllffffEEv20rocsparse_direction_T3_S2_llNS_24const_host_device_scalarIT7_EEPKT2_PKS2_PKT4_PKT5_llS5_PT6_ll16rocsparse_order_21rocsparse_index_base_b
    .private_segment_fixed_size: 0
    .sgpr_count:     42
    .sgpr_spill_count: 0
    .symbol:         _ZN9rocsparseL29bsrmmnt_small_blockdim_kernelILj64ELj64ELj2EllffffEEv20rocsparse_direction_T3_S2_llNS_24const_host_device_scalarIT7_EEPKT2_PKS2_PKT4_PKT5_llS5_PT6_ll16rocsparse_order_21rocsparse_index_base_b.kd
    .uniform_work_group_size: 1
    .uses_dynamic_stack: false
    .vgpr_count:     34
    .vgpr_spill_count: 0
    .wavefront_size: 64
  - .agpr_count:     0
    .args:
      - .offset:         0
        .size:           4
        .value_kind:     by_value
      - .offset:         4
        .size:           4
        .value_kind:     by_value
      - .offset:         8
        .size:           4
        .value_kind:     by_value
      - .offset:         16
        .size:           8
        .value_kind:     by_value
      - .offset:         24
        .size:           8
        .value_kind:     by_value
      - .offset:         32
        .size:           8
        .value_kind:     by_value
      - .actual_access:  read_only
        .address_space:  global
        .offset:         40
        .size:           8
        .value_kind:     global_buffer
      - .actual_access:  read_only
        .address_space:  global
        .offset:         48
        .size:           8
        .value_kind:     global_buffer
      - .actual_access:  read_only
        .address_space:  global
        .offset:         56
        .size:           8
        .value_kind:     global_buffer
      - .actual_access:  read_only
        .address_space:  global
        .offset:         64
        .size:           8
        .value_kind:     global_buffer
      - .offset:         72
        .size:           8
        .value_kind:     by_value
      - .offset:         80
        .size:           8
        .value_kind:     by_value
      - .offset:         88
        .size:           8
        .value_kind:     by_value
      - .address_space:  global
        .offset:         96
        .size:           8
        .value_kind:     global_buffer
      - .offset:         104
        .size:           8
        .value_kind:     by_value
      - .offset:         112
        .size:           8
        .value_kind:     by_value
      - .offset:         120
        .size:           4
        .value_kind:     by_value
      - .offset:         124
        .size:           4
        .value_kind:     by_value
      - .offset:         128
        .size:           1
        .value_kind:     by_value
      - .offset:         136
        .size:           4
        .value_kind:     hidden_block_count_x
      - .offset:         140
        .size:           4
        .value_kind:     hidden_block_count_y
      - .offset:         144
        .size:           4
        .value_kind:     hidden_block_count_z
      - .offset:         148
        .size:           2
        .value_kind:     hidden_group_size_x
      - .offset:         150
        .size:           2
        .value_kind:     hidden_group_size_y
      - .offset:         152
        .size:           2
        .value_kind:     hidden_group_size_z
      - .offset:         154
        .size:           2
        .value_kind:     hidden_remainder_x
      - .offset:         156
        .size:           2
        .value_kind:     hidden_remainder_y
      - .offset:         158
        .size:           2
        .value_kind:     hidden_remainder_z
      - .offset:         176
        .size:           8
        .value_kind:     hidden_global_offset_x
      - .offset:         184
        .size:           8
        .value_kind:     hidden_global_offset_y
      - .offset:         192
        .size:           8
        .value_kind:     hidden_global_offset_z
      - .offset:         200
        .size:           2
        .value_kind:     hidden_grid_dims
    .group_segment_fixed_size: 1792
    .kernarg_segment_align: 8
    .kernarg_segment_size: 392
    .language:       OpenCL C
    .language_version:
      - 2
      - 0
    .max_flat_workgroup_size: 64
    .name:           _ZN9rocsparseL29bsrmmnt_small_blockdim_kernelILj64ELj8ELj2EiiddddEEv20rocsparse_direction_T3_S2_llNS_24const_host_device_scalarIT7_EEPKT2_PKS2_PKT4_PKT5_llS5_PT6_ll16rocsparse_order_21rocsparse_index_base_b
    .private_segment_fixed_size: 0
    .sgpr_count:     33
    .sgpr_spill_count: 0
    .symbol:         _ZN9rocsparseL29bsrmmnt_small_blockdim_kernelILj64ELj8ELj2EiiddddEEv20rocsparse_direction_T3_S2_llNS_24const_host_device_scalarIT7_EEPKT2_PKS2_PKT4_PKT5_llS5_PT6_ll16rocsparse_order_21rocsparse_index_base_b.kd
    .uniform_work_group_size: 1
    .uses_dynamic_stack: false
    .vgpr_count:     46
    .vgpr_spill_count: 0
    .wavefront_size: 64
  - .agpr_count:     0
    .args:
      - .offset:         0
        .size:           4
        .value_kind:     by_value
      - .offset:         4
        .size:           4
        .value_kind:     by_value
      - .offset:         8
        .size:           4
        .value_kind:     by_value
      - .offset:         16
        .size:           8
        .value_kind:     by_value
      - .offset:         24
        .size:           8
        .value_kind:     by_value
      - .offset:         32
        .size:           8
        .value_kind:     by_value
      - .actual_access:  read_only
        .address_space:  global
        .offset:         40
        .size:           8
        .value_kind:     global_buffer
      - .actual_access:  read_only
        .address_space:  global
        .offset:         48
        .size:           8
        .value_kind:     global_buffer
      - .actual_access:  read_only
        .address_space:  global
        .offset:         56
        .size:           8
        .value_kind:     global_buffer
      - .actual_access:  read_only
        .address_space:  global
        .offset:         64
        .size:           8
        .value_kind:     global_buffer
      - .offset:         72
        .size:           8
        .value_kind:     by_value
      - .offset:         80
        .size:           8
        .value_kind:     by_value
      - .offset:         88
        .size:           8
        .value_kind:     by_value
      - .address_space:  global
        .offset:         96
        .size:           8
        .value_kind:     global_buffer
      - .offset:         104
        .size:           8
        .value_kind:     by_value
      - .offset:         112
        .size:           8
        .value_kind:     by_value
      - .offset:         120
        .size:           4
        .value_kind:     by_value
      - .offset:         124
        .size:           4
        .value_kind:     by_value
      - .offset:         128
        .size:           1
        .value_kind:     by_value
      - .offset:         136
        .size:           4
        .value_kind:     hidden_block_count_x
      - .offset:         140
        .size:           4
        .value_kind:     hidden_block_count_y
      - .offset:         144
        .size:           4
        .value_kind:     hidden_block_count_z
      - .offset:         148
        .size:           2
        .value_kind:     hidden_group_size_x
      - .offset:         150
        .size:           2
        .value_kind:     hidden_group_size_y
      - .offset:         152
        .size:           2
        .value_kind:     hidden_group_size_z
      - .offset:         154
        .size:           2
        .value_kind:     hidden_remainder_x
      - .offset:         156
        .size:           2
        .value_kind:     hidden_remainder_y
      - .offset:         158
        .size:           2
        .value_kind:     hidden_remainder_z
      - .offset:         176
        .size:           8
        .value_kind:     hidden_global_offset_x
      - .offset:         184
        .size:           8
        .value_kind:     hidden_global_offset_y
      - .offset:         192
        .size:           8
        .value_kind:     hidden_global_offset_z
      - .offset:         200
        .size:           2
        .value_kind:     hidden_grid_dims
    .group_segment_fixed_size: 1792
    .kernarg_segment_align: 8
    .kernarg_segment_size: 392
    .language:       OpenCL C
    .language_version:
      - 2
      - 0
    .max_flat_workgroup_size: 64
    .name:           _ZN9rocsparseL29bsrmmnt_small_blockdim_kernelILj64ELj16ELj2EiiddddEEv20rocsparse_direction_T3_S2_llNS_24const_host_device_scalarIT7_EEPKT2_PKS2_PKT4_PKT5_llS5_PT6_ll16rocsparse_order_21rocsparse_index_base_b
    .private_segment_fixed_size: 0
    .sgpr_count:     33
    .sgpr_spill_count: 0
    .symbol:         _ZN9rocsparseL29bsrmmnt_small_blockdim_kernelILj64ELj16ELj2EiiddddEEv20rocsparse_direction_T3_S2_llNS_24const_host_device_scalarIT7_EEPKT2_PKS2_PKT4_PKT5_llS5_PT6_ll16rocsparse_order_21rocsparse_index_base_b.kd
    .uniform_work_group_size: 1
    .uses_dynamic_stack: false
    .vgpr_count:     46
    .vgpr_spill_count: 0
    .wavefront_size: 64
  - .agpr_count:     0
    .args:
      - .offset:         0
        .size:           4
        .value_kind:     by_value
      - .offset:         4
        .size:           4
        .value_kind:     by_value
      - .offset:         8
        .size:           4
        .value_kind:     by_value
      - .offset:         16
        .size:           8
        .value_kind:     by_value
      - .offset:         24
        .size:           8
        .value_kind:     by_value
      - .offset:         32
        .size:           8
        .value_kind:     by_value
      - .actual_access:  read_only
        .address_space:  global
        .offset:         40
        .size:           8
        .value_kind:     global_buffer
      - .actual_access:  read_only
        .address_space:  global
        .offset:         48
        .size:           8
        .value_kind:     global_buffer
      - .actual_access:  read_only
        .address_space:  global
        .offset:         56
        .size:           8
        .value_kind:     global_buffer
      - .actual_access:  read_only
        .address_space:  global
        .offset:         64
        .size:           8
        .value_kind:     global_buffer
      - .offset:         72
        .size:           8
        .value_kind:     by_value
      - .offset:         80
        .size:           8
        .value_kind:     by_value
      - .offset:         88
        .size:           8
        .value_kind:     by_value
      - .address_space:  global
        .offset:         96
        .size:           8
        .value_kind:     global_buffer
      - .offset:         104
        .size:           8
        .value_kind:     by_value
      - .offset:         112
        .size:           8
        .value_kind:     by_value
      - .offset:         120
        .size:           4
        .value_kind:     by_value
      - .offset:         124
        .size:           4
        .value_kind:     by_value
      - .offset:         128
        .size:           1
        .value_kind:     by_value
      - .offset:         136
        .size:           4
        .value_kind:     hidden_block_count_x
      - .offset:         140
        .size:           4
        .value_kind:     hidden_block_count_y
      - .offset:         144
        .size:           4
        .value_kind:     hidden_block_count_z
      - .offset:         148
        .size:           2
        .value_kind:     hidden_group_size_x
      - .offset:         150
        .size:           2
        .value_kind:     hidden_group_size_y
      - .offset:         152
        .size:           2
        .value_kind:     hidden_group_size_z
      - .offset:         154
        .size:           2
        .value_kind:     hidden_remainder_x
      - .offset:         156
        .size:           2
        .value_kind:     hidden_remainder_y
      - .offset:         158
        .size:           2
        .value_kind:     hidden_remainder_z
      - .offset:         176
        .size:           8
        .value_kind:     hidden_global_offset_x
      - .offset:         184
        .size:           8
        .value_kind:     hidden_global_offset_y
      - .offset:         192
        .size:           8
        .value_kind:     hidden_global_offset_z
      - .offset:         200
        .size:           2
        .value_kind:     hidden_grid_dims
    .group_segment_fixed_size: 1792
    .kernarg_segment_align: 8
    .kernarg_segment_size: 392
    .language:       OpenCL C
    .language_version:
      - 2
      - 0
    .max_flat_workgroup_size: 64
    .name:           _ZN9rocsparseL29bsrmmnt_small_blockdim_kernelILj64ELj32ELj2EiiddddEEv20rocsparse_direction_T3_S2_llNS_24const_host_device_scalarIT7_EEPKT2_PKS2_PKT4_PKT5_llS5_PT6_ll16rocsparse_order_21rocsparse_index_base_b
    .private_segment_fixed_size: 0
    .sgpr_count:     33
    .sgpr_spill_count: 0
    .symbol:         _ZN9rocsparseL29bsrmmnt_small_blockdim_kernelILj64ELj32ELj2EiiddddEEv20rocsparse_direction_T3_S2_llNS_24const_host_device_scalarIT7_EEPKT2_PKS2_PKT4_PKT5_llS5_PT6_ll16rocsparse_order_21rocsparse_index_base_b.kd
    .uniform_work_group_size: 1
    .uses_dynamic_stack: false
    .vgpr_count:     46
    .vgpr_spill_count: 0
    .wavefront_size: 64
  - .agpr_count:     0
    .args:
      - .offset:         0
        .size:           4
        .value_kind:     by_value
      - .offset:         4
        .size:           4
        .value_kind:     by_value
      - .offset:         8
        .size:           4
        .value_kind:     by_value
      - .offset:         16
        .size:           8
        .value_kind:     by_value
      - .offset:         24
        .size:           8
        .value_kind:     by_value
      - .offset:         32
        .size:           8
        .value_kind:     by_value
      - .actual_access:  read_only
        .address_space:  global
        .offset:         40
        .size:           8
        .value_kind:     global_buffer
      - .actual_access:  read_only
        .address_space:  global
        .offset:         48
        .size:           8
        .value_kind:     global_buffer
      - .actual_access:  read_only
        .address_space:  global
        .offset:         56
        .size:           8
        .value_kind:     global_buffer
      - .actual_access:  read_only
        .address_space:  global
        .offset:         64
        .size:           8
        .value_kind:     global_buffer
      - .offset:         72
        .size:           8
        .value_kind:     by_value
      - .offset:         80
        .size:           8
        .value_kind:     by_value
      - .offset:         88
        .size:           8
        .value_kind:     by_value
      - .address_space:  global
        .offset:         96
        .size:           8
        .value_kind:     global_buffer
      - .offset:         104
        .size:           8
        .value_kind:     by_value
      - .offset:         112
        .size:           8
        .value_kind:     by_value
      - .offset:         120
        .size:           4
        .value_kind:     by_value
      - .offset:         124
        .size:           4
        .value_kind:     by_value
      - .offset:         128
        .size:           1
        .value_kind:     by_value
      - .offset:         136
        .size:           4
        .value_kind:     hidden_block_count_x
      - .offset:         140
        .size:           4
        .value_kind:     hidden_block_count_y
      - .offset:         144
        .size:           4
        .value_kind:     hidden_block_count_z
      - .offset:         148
        .size:           2
        .value_kind:     hidden_group_size_x
      - .offset:         150
        .size:           2
        .value_kind:     hidden_group_size_y
      - .offset:         152
        .size:           2
        .value_kind:     hidden_group_size_z
      - .offset:         154
        .size:           2
        .value_kind:     hidden_remainder_x
      - .offset:         156
        .size:           2
        .value_kind:     hidden_remainder_y
      - .offset:         158
        .size:           2
        .value_kind:     hidden_remainder_z
      - .offset:         176
        .size:           8
        .value_kind:     hidden_global_offset_x
      - .offset:         184
        .size:           8
        .value_kind:     hidden_global_offset_y
      - .offset:         192
        .size:           8
        .value_kind:     hidden_global_offset_z
      - .offset:         200
        .size:           2
        .value_kind:     hidden_grid_dims
    .group_segment_fixed_size: 1792
    .kernarg_segment_align: 8
    .kernarg_segment_size: 392
    .language:       OpenCL C
    .language_version:
      - 2
      - 0
    .max_flat_workgroup_size: 64
    .name:           _ZN9rocsparseL29bsrmmnt_small_blockdim_kernelILj64ELj64ELj2EiiddddEEv20rocsparse_direction_T3_S2_llNS_24const_host_device_scalarIT7_EEPKT2_PKS2_PKT4_PKT5_llS5_PT6_ll16rocsparse_order_21rocsparse_index_base_b
    .private_segment_fixed_size: 0
    .sgpr_count:     33
    .sgpr_spill_count: 0
    .symbol:         _ZN9rocsparseL29bsrmmnt_small_blockdim_kernelILj64ELj64ELj2EiiddddEEv20rocsparse_direction_T3_S2_llNS_24const_host_device_scalarIT7_EEPKT2_PKS2_PKT4_PKT5_llS5_PT6_ll16rocsparse_order_21rocsparse_index_base_b.kd
    .uniform_work_group_size: 1
    .uses_dynamic_stack: false
    .vgpr_count:     44
    .vgpr_spill_count: 0
    .wavefront_size: 64
  - .agpr_count:     0
    .args:
      - .offset:         0
        .size:           4
        .value_kind:     by_value
      - .offset:         4
        .size:           4
        .value_kind:     by_value
      - .offset:         8
        .size:           4
        .value_kind:     by_value
      - .offset:         16
        .size:           8
        .value_kind:     by_value
      - .offset:         24
        .size:           8
        .value_kind:     by_value
      - .offset:         32
        .size:           8
        .value_kind:     by_value
      - .actual_access:  read_only
        .address_space:  global
        .offset:         40
        .size:           8
        .value_kind:     global_buffer
      - .actual_access:  read_only
        .address_space:  global
        .offset:         48
        .size:           8
        .value_kind:     global_buffer
      - .actual_access:  read_only
        .address_space:  global
        .offset:         56
        .size:           8
        .value_kind:     global_buffer
      - .actual_access:  read_only
        .address_space:  global
        .offset:         64
        .size:           8
        .value_kind:     global_buffer
      - .offset:         72
        .size:           8
        .value_kind:     by_value
      - .offset:         80
        .size:           8
        .value_kind:     by_value
      - .offset:         88
        .size:           8
        .value_kind:     by_value
      - .address_space:  global
        .offset:         96
        .size:           8
        .value_kind:     global_buffer
      - .offset:         104
        .size:           8
        .value_kind:     by_value
      - .offset:         112
        .size:           8
        .value_kind:     by_value
      - .offset:         120
        .size:           4
        .value_kind:     by_value
      - .offset:         124
        .size:           4
        .value_kind:     by_value
      - .offset:         128
        .size:           1
        .value_kind:     by_value
      - .offset:         136
        .size:           4
        .value_kind:     hidden_block_count_x
      - .offset:         140
        .size:           4
        .value_kind:     hidden_block_count_y
      - .offset:         144
        .size:           4
        .value_kind:     hidden_block_count_z
      - .offset:         148
        .size:           2
        .value_kind:     hidden_group_size_x
      - .offset:         150
        .size:           2
        .value_kind:     hidden_group_size_y
      - .offset:         152
        .size:           2
        .value_kind:     hidden_group_size_z
      - .offset:         154
        .size:           2
        .value_kind:     hidden_remainder_x
      - .offset:         156
        .size:           2
        .value_kind:     hidden_remainder_y
      - .offset:         158
        .size:           2
        .value_kind:     hidden_remainder_z
      - .offset:         176
        .size:           8
        .value_kind:     hidden_global_offset_x
      - .offset:         184
        .size:           8
        .value_kind:     hidden_global_offset_y
      - .offset:         192
        .size:           8
        .value_kind:     hidden_global_offset_z
      - .offset:         200
        .size:           2
        .value_kind:     hidden_grid_dims
    .group_segment_fixed_size: 1792
    .kernarg_segment_align: 8
    .kernarg_segment_size: 392
    .language:       OpenCL C
    .language_version:
      - 2
      - 0
    .max_flat_workgroup_size: 64
    .name:           _ZN9rocsparseL29bsrmmnt_small_blockdim_kernelILj64ELj8ELj2EliddddEEv20rocsparse_direction_T3_S2_llNS_24const_host_device_scalarIT7_EEPKT2_PKS2_PKT4_PKT5_llS5_PT6_ll16rocsparse_order_21rocsparse_index_base_b
    .private_segment_fixed_size: 0
    .sgpr_count:     33
    .sgpr_spill_count: 0
    .symbol:         _ZN9rocsparseL29bsrmmnt_small_blockdim_kernelILj64ELj8ELj2EliddddEEv20rocsparse_direction_T3_S2_llNS_24const_host_device_scalarIT7_EEPKT2_PKS2_PKT4_PKT5_llS5_PT6_ll16rocsparse_order_21rocsparse_index_base_b.kd
    .uniform_work_group_size: 1
    .uses_dynamic_stack: false
    .vgpr_count:     46
    .vgpr_spill_count: 0
    .wavefront_size: 64
  - .agpr_count:     0
    .args:
      - .offset:         0
        .size:           4
        .value_kind:     by_value
      - .offset:         4
        .size:           4
        .value_kind:     by_value
      - .offset:         8
        .size:           4
        .value_kind:     by_value
      - .offset:         16
        .size:           8
        .value_kind:     by_value
      - .offset:         24
        .size:           8
        .value_kind:     by_value
      - .offset:         32
        .size:           8
        .value_kind:     by_value
      - .actual_access:  read_only
        .address_space:  global
        .offset:         40
        .size:           8
        .value_kind:     global_buffer
      - .actual_access:  read_only
        .address_space:  global
        .offset:         48
        .size:           8
        .value_kind:     global_buffer
      - .actual_access:  read_only
        .address_space:  global
        .offset:         56
        .size:           8
        .value_kind:     global_buffer
      - .actual_access:  read_only
        .address_space:  global
        .offset:         64
        .size:           8
        .value_kind:     global_buffer
      - .offset:         72
        .size:           8
        .value_kind:     by_value
      - .offset:         80
        .size:           8
        .value_kind:     by_value
      - .offset:         88
        .size:           8
        .value_kind:     by_value
      - .address_space:  global
        .offset:         96
        .size:           8
        .value_kind:     global_buffer
      - .offset:         104
        .size:           8
        .value_kind:     by_value
      - .offset:         112
        .size:           8
        .value_kind:     by_value
      - .offset:         120
        .size:           4
        .value_kind:     by_value
      - .offset:         124
        .size:           4
        .value_kind:     by_value
      - .offset:         128
        .size:           1
        .value_kind:     by_value
      - .offset:         136
        .size:           4
        .value_kind:     hidden_block_count_x
      - .offset:         140
        .size:           4
        .value_kind:     hidden_block_count_y
      - .offset:         144
        .size:           4
        .value_kind:     hidden_block_count_z
      - .offset:         148
        .size:           2
        .value_kind:     hidden_group_size_x
      - .offset:         150
        .size:           2
        .value_kind:     hidden_group_size_y
      - .offset:         152
        .size:           2
        .value_kind:     hidden_group_size_z
      - .offset:         154
        .size:           2
        .value_kind:     hidden_remainder_x
      - .offset:         156
        .size:           2
        .value_kind:     hidden_remainder_y
      - .offset:         158
        .size:           2
        .value_kind:     hidden_remainder_z
      - .offset:         176
        .size:           8
        .value_kind:     hidden_global_offset_x
      - .offset:         184
        .size:           8
        .value_kind:     hidden_global_offset_y
      - .offset:         192
        .size:           8
        .value_kind:     hidden_global_offset_z
      - .offset:         200
        .size:           2
        .value_kind:     hidden_grid_dims
    .group_segment_fixed_size: 1792
    .kernarg_segment_align: 8
    .kernarg_segment_size: 392
    .language:       OpenCL C
    .language_version:
      - 2
      - 0
    .max_flat_workgroup_size: 64
    .name:           _ZN9rocsparseL29bsrmmnt_small_blockdim_kernelILj64ELj16ELj2EliddddEEv20rocsparse_direction_T3_S2_llNS_24const_host_device_scalarIT7_EEPKT2_PKS2_PKT4_PKT5_llS5_PT6_ll16rocsparse_order_21rocsparse_index_base_b
    .private_segment_fixed_size: 0
    .sgpr_count:     33
    .sgpr_spill_count: 0
    .symbol:         _ZN9rocsparseL29bsrmmnt_small_blockdim_kernelILj64ELj16ELj2EliddddEEv20rocsparse_direction_T3_S2_llNS_24const_host_device_scalarIT7_EEPKT2_PKS2_PKT4_PKT5_llS5_PT6_ll16rocsparse_order_21rocsparse_index_base_b.kd
    .uniform_work_group_size: 1
    .uses_dynamic_stack: false
    .vgpr_count:     46
    .vgpr_spill_count: 0
    .wavefront_size: 64
  - .agpr_count:     0
    .args:
      - .offset:         0
        .size:           4
        .value_kind:     by_value
      - .offset:         4
        .size:           4
        .value_kind:     by_value
      - .offset:         8
        .size:           4
        .value_kind:     by_value
      - .offset:         16
        .size:           8
        .value_kind:     by_value
      - .offset:         24
        .size:           8
        .value_kind:     by_value
      - .offset:         32
        .size:           8
        .value_kind:     by_value
      - .actual_access:  read_only
        .address_space:  global
        .offset:         40
        .size:           8
        .value_kind:     global_buffer
      - .actual_access:  read_only
        .address_space:  global
        .offset:         48
        .size:           8
        .value_kind:     global_buffer
      - .actual_access:  read_only
        .address_space:  global
        .offset:         56
        .size:           8
        .value_kind:     global_buffer
      - .actual_access:  read_only
        .address_space:  global
        .offset:         64
        .size:           8
        .value_kind:     global_buffer
      - .offset:         72
        .size:           8
        .value_kind:     by_value
      - .offset:         80
        .size:           8
        .value_kind:     by_value
      - .offset:         88
        .size:           8
        .value_kind:     by_value
      - .address_space:  global
        .offset:         96
        .size:           8
        .value_kind:     global_buffer
      - .offset:         104
        .size:           8
        .value_kind:     by_value
      - .offset:         112
        .size:           8
        .value_kind:     by_value
      - .offset:         120
        .size:           4
        .value_kind:     by_value
      - .offset:         124
        .size:           4
        .value_kind:     by_value
      - .offset:         128
        .size:           1
        .value_kind:     by_value
      - .offset:         136
        .size:           4
        .value_kind:     hidden_block_count_x
      - .offset:         140
        .size:           4
        .value_kind:     hidden_block_count_y
      - .offset:         144
        .size:           4
        .value_kind:     hidden_block_count_z
      - .offset:         148
        .size:           2
        .value_kind:     hidden_group_size_x
      - .offset:         150
        .size:           2
        .value_kind:     hidden_group_size_y
      - .offset:         152
        .size:           2
        .value_kind:     hidden_group_size_z
      - .offset:         154
        .size:           2
        .value_kind:     hidden_remainder_x
      - .offset:         156
        .size:           2
        .value_kind:     hidden_remainder_y
      - .offset:         158
        .size:           2
        .value_kind:     hidden_remainder_z
      - .offset:         176
        .size:           8
        .value_kind:     hidden_global_offset_x
      - .offset:         184
        .size:           8
        .value_kind:     hidden_global_offset_y
      - .offset:         192
        .size:           8
        .value_kind:     hidden_global_offset_z
      - .offset:         200
        .size:           2
        .value_kind:     hidden_grid_dims
    .group_segment_fixed_size: 1792
    .kernarg_segment_align: 8
    .kernarg_segment_size: 392
    .language:       OpenCL C
    .language_version:
      - 2
      - 0
    .max_flat_workgroup_size: 64
    .name:           _ZN9rocsparseL29bsrmmnt_small_blockdim_kernelILj64ELj32ELj2EliddddEEv20rocsparse_direction_T3_S2_llNS_24const_host_device_scalarIT7_EEPKT2_PKS2_PKT4_PKT5_llS5_PT6_ll16rocsparse_order_21rocsparse_index_base_b
    .private_segment_fixed_size: 0
    .sgpr_count:     33
    .sgpr_spill_count: 0
    .symbol:         _ZN9rocsparseL29bsrmmnt_small_blockdim_kernelILj64ELj32ELj2EliddddEEv20rocsparse_direction_T3_S2_llNS_24const_host_device_scalarIT7_EEPKT2_PKS2_PKT4_PKT5_llS5_PT6_ll16rocsparse_order_21rocsparse_index_base_b.kd
    .uniform_work_group_size: 1
    .uses_dynamic_stack: false
    .vgpr_count:     46
    .vgpr_spill_count: 0
    .wavefront_size: 64
  - .agpr_count:     0
    .args:
      - .offset:         0
        .size:           4
        .value_kind:     by_value
      - .offset:         4
        .size:           4
        .value_kind:     by_value
      - .offset:         8
        .size:           4
        .value_kind:     by_value
      - .offset:         16
        .size:           8
        .value_kind:     by_value
      - .offset:         24
        .size:           8
        .value_kind:     by_value
      - .offset:         32
        .size:           8
        .value_kind:     by_value
      - .actual_access:  read_only
        .address_space:  global
        .offset:         40
        .size:           8
        .value_kind:     global_buffer
      - .actual_access:  read_only
        .address_space:  global
        .offset:         48
        .size:           8
        .value_kind:     global_buffer
      - .actual_access:  read_only
        .address_space:  global
        .offset:         56
        .size:           8
        .value_kind:     global_buffer
      - .actual_access:  read_only
        .address_space:  global
        .offset:         64
        .size:           8
        .value_kind:     global_buffer
      - .offset:         72
        .size:           8
        .value_kind:     by_value
      - .offset:         80
        .size:           8
        .value_kind:     by_value
      - .offset:         88
        .size:           8
        .value_kind:     by_value
      - .address_space:  global
        .offset:         96
        .size:           8
        .value_kind:     global_buffer
      - .offset:         104
        .size:           8
        .value_kind:     by_value
      - .offset:         112
        .size:           8
        .value_kind:     by_value
      - .offset:         120
        .size:           4
        .value_kind:     by_value
      - .offset:         124
        .size:           4
        .value_kind:     by_value
      - .offset:         128
        .size:           1
        .value_kind:     by_value
      - .offset:         136
        .size:           4
        .value_kind:     hidden_block_count_x
      - .offset:         140
        .size:           4
        .value_kind:     hidden_block_count_y
      - .offset:         144
        .size:           4
        .value_kind:     hidden_block_count_z
      - .offset:         148
        .size:           2
        .value_kind:     hidden_group_size_x
      - .offset:         150
        .size:           2
        .value_kind:     hidden_group_size_y
      - .offset:         152
        .size:           2
        .value_kind:     hidden_group_size_z
      - .offset:         154
        .size:           2
        .value_kind:     hidden_remainder_x
      - .offset:         156
        .size:           2
        .value_kind:     hidden_remainder_y
      - .offset:         158
        .size:           2
        .value_kind:     hidden_remainder_z
      - .offset:         176
        .size:           8
        .value_kind:     hidden_global_offset_x
      - .offset:         184
        .size:           8
        .value_kind:     hidden_global_offset_y
      - .offset:         192
        .size:           8
        .value_kind:     hidden_global_offset_z
      - .offset:         200
        .size:           2
        .value_kind:     hidden_grid_dims
    .group_segment_fixed_size: 1792
    .kernarg_segment_align: 8
    .kernarg_segment_size: 392
    .language:       OpenCL C
    .language_version:
      - 2
      - 0
    .max_flat_workgroup_size: 64
    .name:           _ZN9rocsparseL29bsrmmnt_small_blockdim_kernelILj64ELj64ELj2EliddddEEv20rocsparse_direction_T3_S2_llNS_24const_host_device_scalarIT7_EEPKT2_PKS2_PKT4_PKT5_llS5_PT6_ll16rocsparse_order_21rocsparse_index_base_b
    .private_segment_fixed_size: 0
    .sgpr_count:     33
    .sgpr_spill_count: 0
    .symbol:         _ZN9rocsparseL29bsrmmnt_small_blockdim_kernelILj64ELj64ELj2EliddddEEv20rocsparse_direction_T3_S2_llNS_24const_host_device_scalarIT7_EEPKT2_PKS2_PKT4_PKT5_llS5_PT6_ll16rocsparse_order_21rocsparse_index_base_b.kd
    .uniform_work_group_size: 1
    .uses_dynamic_stack: false
    .vgpr_count:     46
    .vgpr_spill_count: 0
    .wavefront_size: 64
  - .agpr_count:     0
    .args:
      - .offset:         0
        .size:           4
        .value_kind:     by_value
      - .offset:         8
        .size:           8
        .value_kind:     by_value
      - .offset:         16
        .size:           8
        .value_kind:     by_value
      - .offset:         24
        .size:           8
        .value_kind:     by_value
      - .offset:         32
        .size:           8
        .value_kind:     by_value
      - .offset:         40
        .size:           8
        .value_kind:     by_value
      - .actual_access:  read_only
        .address_space:  global
        .offset:         48
        .size:           8
        .value_kind:     global_buffer
      - .actual_access:  read_only
        .address_space:  global
        .offset:         56
        .size:           8
        .value_kind:     global_buffer
      - .actual_access:  read_only
        .address_space:  global
        .offset:         64
        .size:           8
        .value_kind:     global_buffer
      - .actual_access:  read_only
        .address_space:  global
        .offset:         72
        .size:           8
        .value_kind:     global_buffer
      - .offset:         80
        .size:           8
        .value_kind:     by_value
      - .offset:         88
        .size:           8
        .value_kind:     by_value
      - .offset:         96
        .size:           8
        .value_kind:     by_value
      - .address_space:  global
        .offset:         104
        .size:           8
        .value_kind:     global_buffer
      - .offset:         112
        .size:           8
        .value_kind:     by_value
      - .offset:         120
        .size:           8
        .value_kind:     by_value
      - .offset:         128
        .size:           4
        .value_kind:     by_value
      - .offset:         132
        .size:           4
        .value_kind:     by_value
      - .offset:         136
        .size:           1
        .value_kind:     by_value
      - .offset:         144
        .size:           4
        .value_kind:     hidden_block_count_x
      - .offset:         148
        .size:           4
        .value_kind:     hidden_block_count_y
      - .offset:         152
        .size:           4
        .value_kind:     hidden_block_count_z
      - .offset:         156
        .size:           2
        .value_kind:     hidden_group_size_x
      - .offset:         158
        .size:           2
        .value_kind:     hidden_group_size_y
      - .offset:         160
        .size:           2
        .value_kind:     hidden_group_size_z
      - .offset:         162
        .size:           2
        .value_kind:     hidden_remainder_x
      - .offset:         164
        .size:           2
        .value_kind:     hidden_remainder_y
      - .offset:         166
        .size:           2
        .value_kind:     hidden_remainder_z
      - .offset:         184
        .size:           8
        .value_kind:     hidden_global_offset_x
      - .offset:         192
        .size:           8
        .value_kind:     hidden_global_offset_y
      - .offset:         200
        .size:           8
        .value_kind:     hidden_global_offset_z
      - .offset:         208
        .size:           2
        .value_kind:     hidden_grid_dims
    .group_segment_fixed_size: 2048
    .kernarg_segment_align: 8
    .kernarg_segment_size: 400
    .language:       OpenCL C
    .language_version:
      - 2
      - 0
    .max_flat_workgroup_size: 64
    .name:           _ZN9rocsparseL29bsrmmnt_small_blockdim_kernelILj64ELj8ELj2EllddddEEv20rocsparse_direction_T3_S2_llNS_24const_host_device_scalarIT7_EEPKT2_PKS2_PKT4_PKT5_llS5_PT6_ll16rocsparse_order_21rocsparse_index_base_b
    .private_segment_fixed_size: 0
    .sgpr_count:     40
    .sgpr_spill_count: 0
    .symbol:         _ZN9rocsparseL29bsrmmnt_small_blockdim_kernelILj64ELj8ELj2EllddddEEv20rocsparse_direction_T3_S2_llNS_24const_host_device_scalarIT7_EEPKT2_PKS2_PKT4_PKT5_llS5_PT6_ll16rocsparse_order_21rocsparse_index_base_b.kd
    .uniform_work_group_size: 1
    .uses_dynamic_stack: false
    .vgpr_count:     50
    .vgpr_spill_count: 0
    .wavefront_size: 64
  - .agpr_count:     0
    .args:
      - .offset:         0
        .size:           4
        .value_kind:     by_value
      - .offset:         8
        .size:           8
        .value_kind:     by_value
      - .offset:         16
        .size:           8
        .value_kind:     by_value
      - .offset:         24
        .size:           8
        .value_kind:     by_value
      - .offset:         32
        .size:           8
        .value_kind:     by_value
      - .offset:         40
        .size:           8
        .value_kind:     by_value
      - .actual_access:  read_only
        .address_space:  global
        .offset:         48
        .size:           8
        .value_kind:     global_buffer
      - .actual_access:  read_only
        .address_space:  global
        .offset:         56
        .size:           8
        .value_kind:     global_buffer
      - .actual_access:  read_only
        .address_space:  global
        .offset:         64
        .size:           8
        .value_kind:     global_buffer
      - .actual_access:  read_only
        .address_space:  global
        .offset:         72
        .size:           8
        .value_kind:     global_buffer
      - .offset:         80
        .size:           8
        .value_kind:     by_value
      - .offset:         88
        .size:           8
        .value_kind:     by_value
      - .offset:         96
        .size:           8
        .value_kind:     by_value
      - .address_space:  global
        .offset:         104
        .size:           8
        .value_kind:     global_buffer
      - .offset:         112
        .size:           8
        .value_kind:     by_value
      - .offset:         120
        .size:           8
        .value_kind:     by_value
      - .offset:         128
        .size:           4
        .value_kind:     by_value
      - .offset:         132
        .size:           4
        .value_kind:     by_value
      - .offset:         136
        .size:           1
        .value_kind:     by_value
      - .offset:         144
        .size:           4
        .value_kind:     hidden_block_count_x
      - .offset:         148
        .size:           4
        .value_kind:     hidden_block_count_y
      - .offset:         152
        .size:           4
        .value_kind:     hidden_block_count_z
      - .offset:         156
        .size:           2
        .value_kind:     hidden_group_size_x
      - .offset:         158
        .size:           2
        .value_kind:     hidden_group_size_y
      - .offset:         160
        .size:           2
        .value_kind:     hidden_group_size_z
      - .offset:         162
        .size:           2
        .value_kind:     hidden_remainder_x
      - .offset:         164
        .size:           2
        .value_kind:     hidden_remainder_y
      - .offset:         166
        .size:           2
        .value_kind:     hidden_remainder_z
      - .offset:         184
        .size:           8
        .value_kind:     hidden_global_offset_x
      - .offset:         192
        .size:           8
        .value_kind:     hidden_global_offset_y
      - .offset:         200
        .size:           8
        .value_kind:     hidden_global_offset_z
      - .offset:         208
        .size:           2
        .value_kind:     hidden_grid_dims
    .group_segment_fixed_size: 2048
    .kernarg_segment_align: 8
    .kernarg_segment_size: 400
    .language:       OpenCL C
    .language_version:
      - 2
      - 0
    .max_flat_workgroup_size: 64
    .name:           _ZN9rocsparseL29bsrmmnt_small_blockdim_kernelILj64ELj16ELj2EllddddEEv20rocsparse_direction_T3_S2_llNS_24const_host_device_scalarIT7_EEPKT2_PKS2_PKT4_PKT5_llS5_PT6_ll16rocsparse_order_21rocsparse_index_base_b
    .private_segment_fixed_size: 0
    .sgpr_count:     40
    .sgpr_spill_count: 0
    .symbol:         _ZN9rocsparseL29bsrmmnt_small_blockdim_kernelILj64ELj16ELj2EllddddEEv20rocsparse_direction_T3_S2_llNS_24const_host_device_scalarIT7_EEPKT2_PKS2_PKT4_PKT5_llS5_PT6_ll16rocsparse_order_21rocsparse_index_base_b.kd
    .uniform_work_group_size: 1
    .uses_dynamic_stack: false
    .vgpr_count:     50
    .vgpr_spill_count: 0
    .wavefront_size: 64
  - .agpr_count:     0
    .args:
      - .offset:         0
        .size:           4
        .value_kind:     by_value
      - .offset:         8
        .size:           8
        .value_kind:     by_value
      - .offset:         16
        .size:           8
        .value_kind:     by_value
      - .offset:         24
        .size:           8
        .value_kind:     by_value
      - .offset:         32
        .size:           8
        .value_kind:     by_value
      - .offset:         40
        .size:           8
        .value_kind:     by_value
      - .actual_access:  read_only
        .address_space:  global
        .offset:         48
        .size:           8
        .value_kind:     global_buffer
      - .actual_access:  read_only
        .address_space:  global
        .offset:         56
        .size:           8
        .value_kind:     global_buffer
      - .actual_access:  read_only
        .address_space:  global
        .offset:         64
        .size:           8
        .value_kind:     global_buffer
      - .actual_access:  read_only
        .address_space:  global
        .offset:         72
        .size:           8
        .value_kind:     global_buffer
      - .offset:         80
        .size:           8
        .value_kind:     by_value
      - .offset:         88
        .size:           8
        .value_kind:     by_value
      - .offset:         96
        .size:           8
        .value_kind:     by_value
      - .address_space:  global
        .offset:         104
        .size:           8
        .value_kind:     global_buffer
      - .offset:         112
        .size:           8
        .value_kind:     by_value
      - .offset:         120
        .size:           8
        .value_kind:     by_value
      - .offset:         128
        .size:           4
        .value_kind:     by_value
      - .offset:         132
        .size:           4
        .value_kind:     by_value
      - .offset:         136
        .size:           1
        .value_kind:     by_value
      - .offset:         144
        .size:           4
        .value_kind:     hidden_block_count_x
      - .offset:         148
        .size:           4
        .value_kind:     hidden_block_count_y
      - .offset:         152
        .size:           4
        .value_kind:     hidden_block_count_z
      - .offset:         156
        .size:           2
        .value_kind:     hidden_group_size_x
      - .offset:         158
        .size:           2
        .value_kind:     hidden_group_size_y
      - .offset:         160
        .size:           2
        .value_kind:     hidden_group_size_z
      - .offset:         162
        .size:           2
        .value_kind:     hidden_remainder_x
      - .offset:         164
        .size:           2
        .value_kind:     hidden_remainder_y
      - .offset:         166
        .size:           2
        .value_kind:     hidden_remainder_z
      - .offset:         184
        .size:           8
        .value_kind:     hidden_global_offset_x
      - .offset:         192
        .size:           8
        .value_kind:     hidden_global_offset_y
      - .offset:         200
        .size:           8
        .value_kind:     hidden_global_offset_z
      - .offset:         208
        .size:           2
        .value_kind:     hidden_grid_dims
    .group_segment_fixed_size: 2048
    .kernarg_segment_align: 8
    .kernarg_segment_size: 400
    .language:       OpenCL C
    .language_version:
      - 2
      - 0
    .max_flat_workgroup_size: 64
    .name:           _ZN9rocsparseL29bsrmmnt_small_blockdim_kernelILj64ELj32ELj2EllddddEEv20rocsparse_direction_T3_S2_llNS_24const_host_device_scalarIT7_EEPKT2_PKS2_PKT4_PKT5_llS5_PT6_ll16rocsparse_order_21rocsparse_index_base_b
    .private_segment_fixed_size: 0
    .sgpr_count:     40
    .sgpr_spill_count: 0
    .symbol:         _ZN9rocsparseL29bsrmmnt_small_blockdim_kernelILj64ELj32ELj2EllddddEEv20rocsparse_direction_T3_S2_llNS_24const_host_device_scalarIT7_EEPKT2_PKS2_PKT4_PKT5_llS5_PT6_ll16rocsparse_order_21rocsparse_index_base_b.kd
    .uniform_work_group_size: 1
    .uses_dynamic_stack: false
    .vgpr_count:     50
    .vgpr_spill_count: 0
    .wavefront_size: 64
  - .agpr_count:     0
    .args:
      - .offset:         0
        .size:           4
        .value_kind:     by_value
      - .offset:         8
        .size:           8
        .value_kind:     by_value
      - .offset:         16
        .size:           8
        .value_kind:     by_value
      - .offset:         24
        .size:           8
        .value_kind:     by_value
      - .offset:         32
        .size:           8
        .value_kind:     by_value
      - .offset:         40
        .size:           8
        .value_kind:     by_value
      - .actual_access:  read_only
        .address_space:  global
        .offset:         48
        .size:           8
        .value_kind:     global_buffer
      - .actual_access:  read_only
        .address_space:  global
        .offset:         56
        .size:           8
        .value_kind:     global_buffer
      - .actual_access:  read_only
        .address_space:  global
        .offset:         64
        .size:           8
        .value_kind:     global_buffer
      - .actual_access:  read_only
        .address_space:  global
        .offset:         72
        .size:           8
        .value_kind:     global_buffer
      - .offset:         80
        .size:           8
        .value_kind:     by_value
      - .offset:         88
        .size:           8
        .value_kind:     by_value
      - .offset:         96
        .size:           8
        .value_kind:     by_value
      - .address_space:  global
        .offset:         104
        .size:           8
        .value_kind:     global_buffer
      - .offset:         112
        .size:           8
        .value_kind:     by_value
      - .offset:         120
        .size:           8
        .value_kind:     by_value
      - .offset:         128
        .size:           4
        .value_kind:     by_value
      - .offset:         132
        .size:           4
        .value_kind:     by_value
      - .offset:         136
        .size:           1
        .value_kind:     by_value
      - .offset:         144
        .size:           4
        .value_kind:     hidden_block_count_x
      - .offset:         148
        .size:           4
        .value_kind:     hidden_block_count_y
      - .offset:         152
        .size:           4
        .value_kind:     hidden_block_count_z
      - .offset:         156
        .size:           2
        .value_kind:     hidden_group_size_x
      - .offset:         158
        .size:           2
        .value_kind:     hidden_group_size_y
      - .offset:         160
        .size:           2
        .value_kind:     hidden_group_size_z
      - .offset:         162
        .size:           2
        .value_kind:     hidden_remainder_x
      - .offset:         164
        .size:           2
        .value_kind:     hidden_remainder_y
      - .offset:         166
        .size:           2
        .value_kind:     hidden_remainder_z
      - .offset:         184
        .size:           8
        .value_kind:     hidden_global_offset_x
      - .offset:         192
        .size:           8
        .value_kind:     hidden_global_offset_y
      - .offset:         200
        .size:           8
        .value_kind:     hidden_global_offset_z
      - .offset:         208
        .size:           2
        .value_kind:     hidden_grid_dims
    .group_segment_fixed_size: 2048
    .kernarg_segment_align: 8
    .kernarg_segment_size: 400
    .language:       OpenCL C
    .language_version:
      - 2
      - 0
    .max_flat_workgroup_size: 64
    .name:           _ZN9rocsparseL29bsrmmnt_small_blockdim_kernelILj64ELj64ELj2EllddddEEv20rocsparse_direction_T3_S2_llNS_24const_host_device_scalarIT7_EEPKT2_PKS2_PKT4_PKT5_llS5_PT6_ll16rocsparse_order_21rocsparse_index_base_b
    .private_segment_fixed_size: 0
    .sgpr_count:     40
    .sgpr_spill_count: 0
    .symbol:         _ZN9rocsparseL29bsrmmnt_small_blockdim_kernelILj64ELj64ELj2EllddddEEv20rocsparse_direction_T3_S2_llNS_24const_host_device_scalarIT7_EEPKT2_PKS2_PKT4_PKT5_llS5_PT6_ll16rocsparse_order_21rocsparse_index_base_b.kd
    .uniform_work_group_size: 1
    .uses_dynamic_stack: false
    .vgpr_count:     48
    .vgpr_spill_count: 0
    .wavefront_size: 64
  - .agpr_count:     0
    .args:
      - .offset:         0
        .size:           4
        .value_kind:     by_value
      - .offset:         4
        .size:           4
        .value_kind:     by_value
      - .offset:         8
        .size:           4
        .value_kind:     by_value
      - .offset:         16
        .size:           8
        .value_kind:     by_value
      - .offset:         24
        .size:           8
        .value_kind:     by_value
      - .offset:         32
        .size:           8
        .value_kind:     by_value
      - .actual_access:  read_only
        .address_space:  global
        .offset:         40
        .size:           8
        .value_kind:     global_buffer
      - .actual_access:  read_only
        .address_space:  global
        .offset:         48
        .size:           8
        .value_kind:     global_buffer
      - .actual_access:  read_only
        .address_space:  global
        .offset:         56
        .size:           8
        .value_kind:     global_buffer
      - .actual_access:  read_only
        .address_space:  global
        .offset:         64
        .size:           8
        .value_kind:     global_buffer
      - .offset:         72
        .size:           8
        .value_kind:     by_value
      - .offset:         80
        .size:           8
        .value_kind:     by_value
      - .offset:         88
        .size:           8
        .value_kind:     by_value
      - .address_space:  global
        .offset:         96
        .size:           8
        .value_kind:     global_buffer
      - .offset:         104
        .size:           8
        .value_kind:     by_value
      - .offset:         112
        .size:           8
        .value_kind:     by_value
      - .offset:         120
        .size:           4
        .value_kind:     by_value
      - .offset:         124
        .size:           4
        .value_kind:     by_value
      - .offset:         128
        .size:           1
        .value_kind:     by_value
      - .offset:         136
        .size:           4
        .value_kind:     hidden_block_count_x
      - .offset:         140
        .size:           4
        .value_kind:     hidden_block_count_y
      - .offset:         144
        .size:           4
        .value_kind:     hidden_block_count_z
      - .offset:         148
        .size:           2
        .value_kind:     hidden_group_size_x
      - .offset:         150
        .size:           2
        .value_kind:     hidden_group_size_y
      - .offset:         152
        .size:           2
        .value_kind:     hidden_group_size_z
      - .offset:         154
        .size:           2
        .value_kind:     hidden_remainder_x
      - .offset:         156
        .size:           2
        .value_kind:     hidden_remainder_y
      - .offset:         158
        .size:           2
        .value_kind:     hidden_remainder_z
      - .offset:         176
        .size:           8
        .value_kind:     hidden_global_offset_x
      - .offset:         184
        .size:           8
        .value_kind:     hidden_global_offset_y
      - .offset:         192
        .size:           8
        .value_kind:     hidden_global_offset_z
      - .offset:         200
        .size:           2
        .value_kind:     hidden_grid_dims
    .group_segment_fixed_size: 1792
    .kernarg_segment_align: 8
    .kernarg_segment_size: 392
    .language:       OpenCL C
    .language_version:
      - 2
      - 0
    .max_flat_workgroup_size: 64
    .name:           _ZN9rocsparseL29bsrmmnt_small_blockdim_kernelILj64ELj8ELj2Eii21rocsparse_complex_numIfES2_S2_S2_EEv20rocsparse_direction_T3_S4_llNS_24const_host_device_scalarIT7_EEPKT2_PKS4_PKT4_PKT5_llS7_PT6_ll16rocsparse_order_21rocsparse_index_base_b
    .private_segment_fixed_size: 0
    .sgpr_count:     34
    .sgpr_spill_count: 0
    .symbol:         _ZN9rocsparseL29bsrmmnt_small_blockdim_kernelILj64ELj8ELj2Eii21rocsparse_complex_numIfES2_S2_S2_EEv20rocsparse_direction_T3_S4_llNS_24const_host_device_scalarIT7_EEPKT2_PKS4_PKT4_PKT5_llS7_PT6_ll16rocsparse_order_21rocsparse_index_base_b.kd
    .uniform_work_group_size: 1
    .uses_dynamic_stack: false
    .vgpr_count:     50
    .vgpr_spill_count: 0
    .wavefront_size: 64
  - .agpr_count:     0
    .args:
      - .offset:         0
        .size:           4
        .value_kind:     by_value
      - .offset:         4
        .size:           4
        .value_kind:     by_value
      - .offset:         8
        .size:           4
        .value_kind:     by_value
      - .offset:         16
        .size:           8
        .value_kind:     by_value
      - .offset:         24
        .size:           8
        .value_kind:     by_value
      - .offset:         32
        .size:           8
        .value_kind:     by_value
      - .actual_access:  read_only
        .address_space:  global
        .offset:         40
        .size:           8
        .value_kind:     global_buffer
      - .actual_access:  read_only
        .address_space:  global
        .offset:         48
        .size:           8
        .value_kind:     global_buffer
      - .actual_access:  read_only
        .address_space:  global
        .offset:         56
        .size:           8
        .value_kind:     global_buffer
      - .actual_access:  read_only
        .address_space:  global
        .offset:         64
        .size:           8
        .value_kind:     global_buffer
      - .offset:         72
        .size:           8
        .value_kind:     by_value
      - .offset:         80
        .size:           8
        .value_kind:     by_value
      - .offset:         88
        .size:           8
        .value_kind:     by_value
      - .address_space:  global
        .offset:         96
        .size:           8
        .value_kind:     global_buffer
      - .offset:         104
        .size:           8
        .value_kind:     by_value
      - .offset:         112
        .size:           8
        .value_kind:     by_value
      - .offset:         120
        .size:           4
        .value_kind:     by_value
      - .offset:         124
        .size:           4
        .value_kind:     by_value
      - .offset:         128
        .size:           1
        .value_kind:     by_value
      - .offset:         136
        .size:           4
        .value_kind:     hidden_block_count_x
      - .offset:         140
        .size:           4
        .value_kind:     hidden_block_count_y
      - .offset:         144
        .size:           4
        .value_kind:     hidden_block_count_z
      - .offset:         148
        .size:           2
        .value_kind:     hidden_group_size_x
      - .offset:         150
        .size:           2
        .value_kind:     hidden_group_size_y
      - .offset:         152
        .size:           2
        .value_kind:     hidden_group_size_z
      - .offset:         154
        .size:           2
        .value_kind:     hidden_remainder_x
      - .offset:         156
        .size:           2
        .value_kind:     hidden_remainder_y
      - .offset:         158
        .size:           2
        .value_kind:     hidden_remainder_z
      - .offset:         176
        .size:           8
        .value_kind:     hidden_global_offset_x
      - .offset:         184
        .size:           8
        .value_kind:     hidden_global_offset_y
      - .offset:         192
        .size:           8
        .value_kind:     hidden_global_offset_z
      - .offset:         200
        .size:           2
        .value_kind:     hidden_grid_dims
    .group_segment_fixed_size: 1792
    .kernarg_segment_align: 8
    .kernarg_segment_size: 392
    .language:       OpenCL C
    .language_version:
      - 2
      - 0
    .max_flat_workgroup_size: 64
    .name:           _ZN9rocsparseL29bsrmmnt_small_blockdim_kernelILj64ELj16ELj2Eii21rocsparse_complex_numIfES2_S2_S2_EEv20rocsparse_direction_T3_S4_llNS_24const_host_device_scalarIT7_EEPKT2_PKS4_PKT4_PKT5_llS7_PT6_ll16rocsparse_order_21rocsparse_index_base_b
    .private_segment_fixed_size: 0
    .sgpr_count:     34
    .sgpr_spill_count: 0
    .symbol:         _ZN9rocsparseL29bsrmmnt_small_blockdim_kernelILj64ELj16ELj2Eii21rocsparse_complex_numIfES2_S2_S2_EEv20rocsparse_direction_T3_S4_llNS_24const_host_device_scalarIT7_EEPKT2_PKS4_PKT4_PKT5_llS7_PT6_ll16rocsparse_order_21rocsparse_index_base_b.kd
    .uniform_work_group_size: 1
    .uses_dynamic_stack: false
    .vgpr_count:     50
    .vgpr_spill_count: 0
    .wavefront_size: 64
  - .agpr_count:     0
    .args:
      - .offset:         0
        .size:           4
        .value_kind:     by_value
      - .offset:         4
        .size:           4
        .value_kind:     by_value
      - .offset:         8
        .size:           4
        .value_kind:     by_value
      - .offset:         16
        .size:           8
        .value_kind:     by_value
      - .offset:         24
        .size:           8
        .value_kind:     by_value
      - .offset:         32
        .size:           8
        .value_kind:     by_value
      - .actual_access:  read_only
        .address_space:  global
        .offset:         40
        .size:           8
        .value_kind:     global_buffer
      - .actual_access:  read_only
        .address_space:  global
        .offset:         48
        .size:           8
        .value_kind:     global_buffer
      - .actual_access:  read_only
        .address_space:  global
        .offset:         56
        .size:           8
        .value_kind:     global_buffer
      - .actual_access:  read_only
        .address_space:  global
        .offset:         64
        .size:           8
        .value_kind:     global_buffer
      - .offset:         72
        .size:           8
        .value_kind:     by_value
      - .offset:         80
        .size:           8
        .value_kind:     by_value
      - .offset:         88
        .size:           8
        .value_kind:     by_value
      - .address_space:  global
        .offset:         96
        .size:           8
        .value_kind:     global_buffer
      - .offset:         104
        .size:           8
        .value_kind:     by_value
      - .offset:         112
        .size:           8
        .value_kind:     by_value
      - .offset:         120
        .size:           4
        .value_kind:     by_value
      - .offset:         124
        .size:           4
        .value_kind:     by_value
      - .offset:         128
        .size:           1
        .value_kind:     by_value
      - .offset:         136
        .size:           4
        .value_kind:     hidden_block_count_x
      - .offset:         140
        .size:           4
        .value_kind:     hidden_block_count_y
      - .offset:         144
        .size:           4
        .value_kind:     hidden_block_count_z
      - .offset:         148
        .size:           2
        .value_kind:     hidden_group_size_x
      - .offset:         150
        .size:           2
        .value_kind:     hidden_group_size_y
      - .offset:         152
        .size:           2
        .value_kind:     hidden_group_size_z
      - .offset:         154
        .size:           2
        .value_kind:     hidden_remainder_x
      - .offset:         156
        .size:           2
        .value_kind:     hidden_remainder_y
      - .offset:         158
        .size:           2
        .value_kind:     hidden_remainder_z
      - .offset:         176
        .size:           8
        .value_kind:     hidden_global_offset_x
      - .offset:         184
        .size:           8
        .value_kind:     hidden_global_offset_y
      - .offset:         192
        .size:           8
        .value_kind:     hidden_global_offset_z
      - .offset:         200
        .size:           2
        .value_kind:     hidden_grid_dims
    .group_segment_fixed_size: 1792
    .kernarg_segment_align: 8
    .kernarg_segment_size: 392
    .language:       OpenCL C
    .language_version:
      - 2
      - 0
    .max_flat_workgroup_size: 64
    .name:           _ZN9rocsparseL29bsrmmnt_small_blockdim_kernelILj64ELj32ELj2Eii21rocsparse_complex_numIfES2_S2_S2_EEv20rocsparse_direction_T3_S4_llNS_24const_host_device_scalarIT7_EEPKT2_PKS4_PKT4_PKT5_llS7_PT6_ll16rocsparse_order_21rocsparse_index_base_b
    .private_segment_fixed_size: 0
    .sgpr_count:     34
    .sgpr_spill_count: 0
    .symbol:         _ZN9rocsparseL29bsrmmnt_small_blockdim_kernelILj64ELj32ELj2Eii21rocsparse_complex_numIfES2_S2_S2_EEv20rocsparse_direction_T3_S4_llNS_24const_host_device_scalarIT7_EEPKT2_PKS4_PKT4_PKT5_llS7_PT6_ll16rocsparse_order_21rocsparse_index_base_b.kd
    .uniform_work_group_size: 1
    .uses_dynamic_stack: false
    .vgpr_count:     50
    .vgpr_spill_count: 0
    .wavefront_size: 64
  - .agpr_count:     0
    .args:
      - .offset:         0
        .size:           4
        .value_kind:     by_value
      - .offset:         4
        .size:           4
        .value_kind:     by_value
      - .offset:         8
        .size:           4
        .value_kind:     by_value
      - .offset:         16
        .size:           8
        .value_kind:     by_value
      - .offset:         24
        .size:           8
        .value_kind:     by_value
      - .offset:         32
        .size:           8
        .value_kind:     by_value
      - .actual_access:  read_only
        .address_space:  global
        .offset:         40
        .size:           8
        .value_kind:     global_buffer
      - .actual_access:  read_only
        .address_space:  global
        .offset:         48
        .size:           8
        .value_kind:     global_buffer
      - .actual_access:  read_only
        .address_space:  global
        .offset:         56
        .size:           8
        .value_kind:     global_buffer
      - .actual_access:  read_only
        .address_space:  global
        .offset:         64
        .size:           8
        .value_kind:     global_buffer
      - .offset:         72
        .size:           8
        .value_kind:     by_value
      - .offset:         80
        .size:           8
        .value_kind:     by_value
      - .offset:         88
        .size:           8
        .value_kind:     by_value
      - .address_space:  global
        .offset:         96
        .size:           8
        .value_kind:     global_buffer
      - .offset:         104
        .size:           8
        .value_kind:     by_value
      - .offset:         112
        .size:           8
        .value_kind:     by_value
      - .offset:         120
        .size:           4
        .value_kind:     by_value
      - .offset:         124
        .size:           4
        .value_kind:     by_value
      - .offset:         128
        .size:           1
        .value_kind:     by_value
      - .offset:         136
        .size:           4
        .value_kind:     hidden_block_count_x
      - .offset:         140
        .size:           4
        .value_kind:     hidden_block_count_y
      - .offset:         144
        .size:           4
        .value_kind:     hidden_block_count_z
      - .offset:         148
        .size:           2
        .value_kind:     hidden_group_size_x
      - .offset:         150
        .size:           2
        .value_kind:     hidden_group_size_y
      - .offset:         152
        .size:           2
        .value_kind:     hidden_group_size_z
      - .offset:         154
        .size:           2
        .value_kind:     hidden_remainder_x
      - .offset:         156
        .size:           2
        .value_kind:     hidden_remainder_y
      - .offset:         158
        .size:           2
        .value_kind:     hidden_remainder_z
      - .offset:         176
        .size:           8
        .value_kind:     hidden_global_offset_x
      - .offset:         184
        .size:           8
        .value_kind:     hidden_global_offset_y
      - .offset:         192
        .size:           8
        .value_kind:     hidden_global_offset_z
      - .offset:         200
        .size:           2
        .value_kind:     hidden_grid_dims
    .group_segment_fixed_size: 1792
    .kernarg_segment_align: 8
    .kernarg_segment_size: 392
    .language:       OpenCL C
    .language_version:
      - 2
      - 0
    .max_flat_workgroup_size: 64
    .name:           _ZN9rocsparseL29bsrmmnt_small_blockdim_kernelILj64ELj64ELj2Eii21rocsparse_complex_numIfES2_S2_S2_EEv20rocsparse_direction_T3_S4_llNS_24const_host_device_scalarIT7_EEPKT2_PKS4_PKT4_PKT5_llS7_PT6_ll16rocsparse_order_21rocsparse_index_base_b
    .private_segment_fixed_size: 0
    .sgpr_count:     34
    .sgpr_spill_count: 0
    .symbol:         _ZN9rocsparseL29bsrmmnt_small_blockdim_kernelILj64ELj64ELj2Eii21rocsparse_complex_numIfES2_S2_S2_EEv20rocsparse_direction_T3_S4_llNS_24const_host_device_scalarIT7_EEPKT2_PKS4_PKT4_PKT5_llS7_PT6_ll16rocsparse_order_21rocsparse_index_base_b.kd
    .uniform_work_group_size: 1
    .uses_dynamic_stack: false
    .vgpr_count:     48
    .vgpr_spill_count: 0
    .wavefront_size: 64
  - .agpr_count:     0
    .args:
      - .offset:         0
        .size:           4
        .value_kind:     by_value
      - .offset:         4
        .size:           4
        .value_kind:     by_value
      - .offset:         8
        .size:           4
        .value_kind:     by_value
      - .offset:         16
        .size:           8
        .value_kind:     by_value
      - .offset:         24
        .size:           8
        .value_kind:     by_value
      - .offset:         32
        .size:           8
        .value_kind:     by_value
      - .actual_access:  read_only
        .address_space:  global
        .offset:         40
        .size:           8
        .value_kind:     global_buffer
      - .actual_access:  read_only
        .address_space:  global
        .offset:         48
        .size:           8
        .value_kind:     global_buffer
      - .actual_access:  read_only
        .address_space:  global
        .offset:         56
        .size:           8
        .value_kind:     global_buffer
      - .actual_access:  read_only
        .address_space:  global
        .offset:         64
        .size:           8
        .value_kind:     global_buffer
      - .offset:         72
        .size:           8
        .value_kind:     by_value
      - .offset:         80
        .size:           8
        .value_kind:     by_value
      - .offset:         88
        .size:           8
        .value_kind:     by_value
      - .address_space:  global
        .offset:         96
        .size:           8
        .value_kind:     global_buffer
      - .offset:         104
        .size:           8
        .value_kind:     by_value
      - .offset:         112
        .size:           8
        .value_kind:     by_value
      - .offset:         120
        .size:           4
        .value_kind:     by_value
      - .offset:         124
        .size:           4
        .value_kind:     by_value
      - .offset:         128
        .size:           1
        .value_kind:     by_value
      - .offset:         136
        .size:           4
        .value_kind:     hidden_block_count_x
      - .offset:         140
        .size:           4
        .value_kind:     hidden_block_count_y
      - .offset:         144
        .size:           4
        .value_kind:     hidden_block_count_z
      - .offset:         148
        .size:           2
        .value_kind:     hidden_group_size_x
      - .offset:         150
        .size:           2
        .value_kind:     hidden_group_size_y
      - .offset:         152
        .size:           2
        .value_kind:     hidden_group_size_z
      - .offset:         154
        .size:           2
        .value_kind:     hidden_remainder_x
      - .offset:         156
        .size:           2
        .value_kind:     hidden_remainder_y
      - .offset:         158
        .size:           2
        .value_kind:     hidden_remainder_z
      - .offset:         176
        .size:           8
        .value_kind:     hidden_global_offset_x
      - .offset:         184
        .size:           8
        .value_kind:     hidden_global_offset_y
      - .offset:         192
        .size:           8
        .value_kind:     hidden_global_offset_z
      - .offset:         200
        .size:           2
        .value_kind:     hidden_grid_dims
    .group_segment_fixed_size: 1792
    .kernarg_segment_align: 8
    .kernarg_segment_size: 392
    .language:       OpenCL C
    .language_version:
      - 2
      - 0
    .max_flat_workgroup_size: 64
    .name:           _ZN9rocsparseL29bsrmmnt_small_blockdim_kernelILj64ELj8ELj2Eli21rocsparse_complex_numIfES2_S2_S2_EEv20rocsparse_direction_T3_S4_llNS_24const_host_device_scalarIT7_EEPKT2_PKS4_PKT4_PKT5_llS7_PT6_ll16rocsparse_order_21rocsparse_index_base_b
    .private_segment_fixed_size: 0
    .sgpr_count:     34
    .sgpr_spill_count: 0
    .symbol:         _ZN9rocsparseL29bsrmmnt_small_blockdim_kernelILj64ELj8ELj2Eli21rocsparse_complex_numIfES2_S2_S2_EEv20rocsparse_direction_T3_S4_llNS_24const_host_device_scalarIT7_EEPKT2_PKS4_PKT4_PKT5_llS7_PT6_ll16rocsparse_order_21rocsparse_index_base_b.kd
    .uniform_work_group_size: 1
    .uses_dynamic_stack: false
    .vgpr_count:     52
    .vgpr_spill_count: 0
    .wavefront_size: 64
  - .agpr_count:     0
    .args:
      - .offset:         0
        .size:           4
        .value_kind:     by_value
      - .offset:         4
        .size:           4
        .value_kind:     by_value
      - .offset:         8
        .size:           4
        .value_kind:     by_value
      - .offset:         16
        .size:           8
        .value_kind:     by_value
      - .offset:         24
        .size:           8
        .value_kind:     by_value
      - .offset:         32
        .size:           8
        .value_kind:     by_value
      - .actual_access:  read_only
        .address_space:  global
        .offset:         40
        .size:           8
        .value_kind:     global_buffer
      - .actual_access:  read_only
        .address_space:  global
        .offset:         48
        .size:           8
        .value_kind:     global_buffer
      - .actual_access:  read_only
        .address_space:  global
        .offset:         56
        .size:           8
        .value_kind:     global_buffer
      - .actual_access:  read_only
        .address_space:  global
        .offset:         64
        .size:           8
        .value_kind:     global_buffer
      - .offset:         72
        .size:           8
        .value_kind:     by_value
      - .offset:         80
        .size:           8
        .value_kind:     by_value
      - .offset:         88
        .size:           8
        .value_kind:     by_value
      - .address_space:  global
        .offset:         96
        .size:           8
        .value_kind:     global_buffer
      - .offset:         104
        .size:           8
        .value_kind:     by_value
      - .offset:         112
        .size:           8
        .value_kind:     by_value
      - .offset:         120
        .size:           4
        .value_kind:     by_value
      - .offset:         124
        .size:           4
        .value_kind:     by_value
      - .offset:         128
        .size:           1
        .value_kind:     by_value
      - .offset:         136
        .size:           4
        .value_kind:     hidden_block_count_x
      - .offset:         140
        .size:           4
        .value_kind:     hidden_block_count_y
      - .offset:         144
        .size:           4
        .value_kind:     hidden_block_count_z
      - .offset:         148
        .size:           2
        .value_kind:     hidden_group_size_x
      - .offset:         150
        .size:           2
        .value_kind:     hidden_group_size_y
      - .offset:         152
        .size:           2
        .value_kind:     hidden_group_size_z
      - .offset:         154
        .size:           2
        .value_kind:     hidden_remainder_x
      - .offset:         156
        .size:           2
        .value_kind:     hidden_remainder_y
      - .offset:         158
        .size:           2
        .value_kind:     hidden_remainder_z
      - .offset:         176
        .size:           8
        .value_kind:     hidden_global_offset_x
      - .offset:         184
        .size:           8
        .value_kind:     hidden_global_offset_y
      - .offset:         192
        .size:           8
        .value_kind:     hidden_global_offset_z
      - .offset:         200
        .size:           2
        .value_kind:     hidden_grid_dims
    .group_segment_fixed_size: 1792
    .kernarg_segment_align: 8
    .kernarg_segment_size: 392
    .language:       OpenCL C
    .language_version:
      - 2
      - 0
    .max_flat_workgroup_size: 64
    .name:           _ZN9rocsparseL29bsrmmnt_small_blockdim_kernelILj64ELj16ELj2Eli21rocsparse_complex_numIfES2_S2_S2_EEv20rocsparse_direction_T3_S4_llNS_24const_host_device_scalarIT7_EEPKT2_PKS4_PKT4_PKT5_llS7_PT6_ll16rocsparse_order_21rocsparse_index_base_b
    .private_segment_fixed_size: 0
    .sgpr_count:     34
    .sgpr_spill_count: 0
    .symbol:         _ZN9rocsparseL29bsrmmnt_small_blockdim_kernelILj64ELj16ELj2Eli21rocsparse_complex_numIfES2_S2_S2_EEv20rocsparse_direction_T3_S4_llNS_24const_host_device_scalarIT7_EEPKT2_PKS4_PKT4_PKT5_llS7_PT6_ll16rocsparse_order_21rocsparse_index_base_b.kd
    .uniform_work_group_size: 1
    .uses_dynamic_stack: false
    .vgpr_count:     52
    .vgpr_spill_count: 0
    .wavefront_size: 64
  - .agpr_count:     0
    .args:
      - .offset:         0
        .size:           4
        .value_kind:     by_value
      - .offset:         4
        .size:           4
        .value_kind:     by_value
      - .offset:         8
        .size:           4
        .value_kind:     by_value
      - .offset:         16
        .size:           8
        .value_kind:     by_value
      - .offset:         24
        .size:           8
        .value_kind:     by_value
      - .offset:         32
        .size:           8
        .value_kind:     by_value
      - .actual_access:  read_only
        .address_space:  global
        .offset:         40
        .size:           8
        .value_kind:     global_buffer
      - .actual_access:  read_only
        .address_space:  global
        .offset:         48
        .size:           8
        .value_kind:     global_buffer
      - .actual_access:  read_only
        .address_space:  global
        .offset:         56
        .size:           8
        .value_kind:     global_buffer
      - .actual_access:  read_only
        .address_space:  global
        .offset:         64
        .size:           8
        .value_kind:     global_buffer
      - .offset:         72
        .size:           8
        .value_kind:     by_value
      - .offset:         80
        .size:           8
        .value_kind:     by_value
      - .offset:         88
        .size:           8
        .value_kind:     by_value
      - .address_space:  global
        .offset:         96
        .size:           8
        .value_kind:     global_buffer
      - .offset:         104
        .size:           8
        .value_kind:     by_value
      - .offset:         112
        .size:           8
        .value_kind:     by_value
      - .offset:         120
        .size:           4
        .value_kind:     by_value
      - .offset:         124
        .size:           4
        .value_kind:     by_value
      - .offset:         128
        .size:           1
        .value_kind:     by_value
      - .offset:         136
        .size:           4
        .value_kind:     hidden_block_count_x
      - .offset:         140
        .size:           4
        .value_kind:     hidden_block_count_y
      - .offset:         144
        .size:           4
        .value_kind:     hidden_block_count_z
      - .offset:         148
        .size:           2
        .value_kind:     hidden_group_size_x
      - .offset:         150
        .size:           2
        .value_kind:     hidden_group_size_y
      - .offset:         152
        .size:           2
        .value_kind:     hidden_group_size_z
      - .offset:         154
        .size:           2
        .value_kind:     hidden_remainder_x
      - .offset:         156
        .size:           2
        .value_kind:     hidden_remainder_y
      - .offset:         158
        .size:           2
        .value_kind:     hidden_remainder_z
      - .offset:         176
        .size:           8
        .value_kind:     hidden_global_offset_x
      - .offset:         184
        .size:           8
        .value_kind:     hidden_global_offset_y
      - .offset:         192
        .size:           8
        .value_kind:     hidden_global_offset_z
      - .offset:         200
        .size:           2
        .value_kind:     hidden_grid_dims
    .group_segment_fixed_size: 1792
    .kernarg_segment_align: 8
    .kernarg_segment_size: 392
    .language:       OpenCL C
    .language_version:
      - 2
      - 0
    .max_flat_workgroup_size: 64
    .name:           _ZN9rocsparseL29bsrmmnt_small_blockdim_kernelILj64ELj32ELj2Eli21rocsparse_complex_numIfES2_S2_S2_EEv20rocsparse_direction_T3_S4_llNS_24const_host_device_scalarIT7_EEPKT2_PKS4_PKT4_PKT5_llS7_PT6_ll16rocsparse_order_21rocsparse_index_base_b
    .private_segment_fixed_size: 0
    .sgpr_count:     34
    .sgpr_spill_count: 0
    .symbol:         _ZN9rocsparseL29bsrmmnt_small_blockdim_kernelILj64ELj32ELj2Eli21rocsparse_complex_numIfES2_S2_S2_EEv20rocsparse_direction_T3_S4_llNS_24const_host_device_scalarIT7_EEPKT2_PKS4_PKT4_PKT5_llS7_PT6_ll16rocsparse_order_21rocsparse_index_base_b.kd
    .uniform_work_group_size: 1
    .uses_dynamic_stack: false
    .vgpr_count:     52
    .vgpr_spill_count: 0
    .wavefront_size: 64
  - .agpr_count:     0
    .args:
      - .offset:         0
        .size:           4
        .value_kind:     by_value
      - .offset:         4
        .size:           4
        .value_kind:     by_value
      - .offset:         8
        .size:           4
        .value_kind:     by_value
      - .offset:         16
        .size:           8
        .value_kind:     by_value
      - .offset:         24
        .size:           8
        .value_kind:     by_value
      - .offset:         32
        .size:           8
        .value_kind:     by_value
      - .actual_access:  read_only
        .address_space:  global
        .offset:         40
        .size:           8
        .value_kind:     global_buffer
      - .actual_access:  read_only
        .address_space:  global
        .offset:         48
        .size:           8
        .value_kind:     global_buffer
      - .actual_access:  read_only
        .address_space:  global
        .offset:         56
        .size:           8
        .value_kind:     global_buffer
      - .actual_access:  read_only
        .address_space:  global
        .offset:         64
        .size:           8
        .value_kind:     global_buffer
      - .offset:         72
        .size:           8
        .value_kind:     by_value
      - .offset:         80
        .size:           8
        .value_kind:     by_value
      - .offset:         88
        .size:           8
        .value_kind:     by_value
      - .address_space:  global
        .offset:         96
        .size:           8
        .value_kind:     global_buffer
      - .offset:         104
        .size:           8
        .value_kind:     by_value
      - .offset:         112
        .size:           8
        .value_kind:     by_value
      - .offset:         120
        .size:           4
        .value_kind:     by_value
      - .offset:         124
        .size:           4
        .value_kind:     by_value
      - .offset:         128
        .size:           1
        .value_kind:     by_value
      - .offset:         136
        .size:           4
        .value_kind:     hidden_block_count_x
      - .offset:         140
        .size:           4
        .value_kind:     hidden_block_count_y
      - .offset:         144
        .size:           4
        .value_kind:     hidden_block_count_z
      - .offset:         148
        .size:           2
        .value_kind:     hidden_group_size_x
      - .offset:         150
        .size:           2
        .value_kind:     hidden_group_size_y
      - .offset:         152
        .size:           2
        .value_kind:     hidden_group_size_z
      - .offset:         154
        .size:           2
        .value_kind:     hidden_remainder_x
      - .offset:         156
        .size:           2
        .value_kind:     hidden_remainder_y
      - .offset:         158
        .size:           2
        .value_kind:     hidden_remainder_z
      - .offset:         176
        .size:           8
        .value_kind:     hidden_global_offset_x
      - .offset:         184
        .size:           8
        .value_kind:     hidden_global_offset_y
      - .offset:         192
        .size:           8
        .value_kind:     hidden_global_offset_z
      - .offset:         200
        .size:           2
        .value_kind:     hidden_grid_dims
    .group_segment_fixed_size: 1792
    .kernarg_segment_align: 8
    .kernarg_segment_size: 392
    .language:       OpenCL C
    .language_version:
      - 2
      - 0
    .max_flat_workgroup_size: 64
    .name:           _ZN9rocsparseL29bsrmmnt_small_blockdim_kernelILj64ELj64ELj2Eli21rocsparse_complex_numIfES2_S2_S2_EEv20rocsparse_direction_T3_S4_llNS_24const_host_device_scalarIT7_EEPKT2_PKS4_PKT4_PKT5_llS7_PT6_ll16rocsparse_order_21rocsparse_index_base_b
    .private_segment_fixed_size: 0
    .sgpr_count:     34
    .sgpr_spill_count: 0
    .symbol:         _ZN9rocsparseL29bsrmmnt_small_blockdim_kernelILj64ELj64ELj2Eli21rocsparse_complex_numIfES2_S2_S2_EEv20rocsparse_direction_T3_S4_llNS_24const_host_device_scalarIT7_EEPKT2_PKS4_PKT4_PKT5_llS7_PT6_ll16rocsparse_order_21rocsparse_index_base_b.kd
    .uniform_work_group_size: 1
    .uses_dynamic_stack: false
    .vgpr_count:     52
    .vgpr_spill_count: 0
    .wavefront_size: 64
  - .agpr_count:     0
    .args:
      - .offset:         0
        .size:           4
        .value_kind:     by_value
      - .offset:         8
        .size:           8
        .value_kind:     by_value
      - .offset:         16
        .size:           8
        .value_kind:     by_value
      - .offset:         24
        .size:           8
        .value_kind:     by_value
      - .offset:         32
        .size:           8
        .value_kind:     by_value
      - .offset:         40
        .size:           8
        .value_kind:     by_value
      - .actual_access:  read_only
        .address_space:  global
        .offset:         48
        .size:           8
        .value_kind:     global_buffer
      - .actual_access:  read_only
        .address_space:  global
        .offset:         56
        .size:           8
        .value_kind:     global_buffer
      - .actual_access:  read_only
        .address_space:  global
        .offset:         64
        .size:           8
        .value_kind:     global_buffer
      - .actual_access:  read_only
        .address_space:  global
        .offset:         72
        .size:           8
        .value_kind:     global_buffer
      - .offset:         80
        .size:           8
        .value_kind:     by_value
      - .offset:         88
        .size:           8
        .value_kind:     by_value
      - .offset:         96
        .size:           8
        .value_kind:     by_value
      - .address_space:  global
        .offset:         104
        .size:           8
        .value_kind:     global_buffer
      - .offset:         112
        .size:           8
        .value_kind:     by_value
      - .offset:         120
        .size:           8
        .value_kind:     by_value
      - .offset:         128
        .size:           4
        .value_kind:     by_value
      - .offset:         132
        .size:           4
        .value_kind:     by_value
      - .offset:         136
        .size:           1
        .value_kind:     by_value
      - .offset:         144
        .size:           4
        .value_kind:     hidden_block_count_x
      - .offset:         148
        .size:           4
        .value_kind:     hidden_block_count_y
      - .offset:         152
        .size:           4
        .value_kind:     hidden_block_count_z
      - .offset:         156
        .size:           2
        .value_kind:     hidden_group_size_x
      - .offset:         158
        .size:           2
        .value_kind:     hidden_group_size_y
      - .offset:         160
        .size:           2
        .value_kind:     hidden_group_size_z
      - .offset:         162
        .size:           2
        .value_kind:     hidden_remainder_x
      - .offset:         164
        .size:           2
        .value_kind:     hidden_remainder_y
      - .offset:         166
        .size:           2
        .value_kind:     hidden_remainder_z
      - .offset:         184
        .size:           8
        .value_kind:     hidden_global_offset_x
      - .offset:         192
        .size:           8
        .value_kind:     hidden_global_offset_y
      - .offset:         200
        .size:           8
        .value_kind:     hidden_global_offset_z
      - .offset:         208
        .size:           2
        .value_kind:     hidden_grid_dims
    .group_segment_fixed_size: 2048
    .kernarg_segment_align: 8
    .kernarg_segment_size: 400
    .language:       OpenCL C
    .language_version:
      - 2
      - 0
    .max_flat_workgroup_size: 64
    .name:           _ZN9rocsparseL29bsrmmnt_small_blockdim_kernelILj64ELj8ELj2Ell21rocsparse_complex_numIfES2_S2_S2_EEv20rocsparse_direction_T3_S4_llNS_24const_host_device_scalarIT7_EEPKT2_PKS4_PKT4_PKT5_llS7_PT6_ll16rocsparse_order_21rocsparse_index_base_b
    .private_segment_fixed_size: 0
    .sgpr_count:     40
    .sgpr_spill_count: 0
    .symbol:         _ZN9rocsparseL29bsrmmnt_small_blockdim_kernelILj64ELj8ELj2Ell21rocsparse_complex_numIfES2_S2_S2_EEv20rocsparse_direction_T3_S4_llNS_24const_host_device_scalarIT7_EEPKT2_PKS4_PKT4_PKT5_llS7_PT6_ll16rocsparse_order_21rocsparse_index_base_b.kd
    .uniform_work_group_size: 1
    .uses_dynamic_stack: false
    .vgpr_count:     54
    .vgpr_spill_count: 0
    .wavefront_size: 64
  - .agpr_count:     0
    .args:
      - .offset:         0
        .size:           4
        .value_kind:     by_value
      - .offset:         8
        .size:           8
        .value_kind:     by_value
      - .offset:         16
        .size:           8
        .value_kind:     by_value
      - .offset:         24
        .size:           8
        .value_kind:     by_value
      - .offset:         32
        .size:           8
        .value_kind:     by_value
      - .offset:         40
        .size:           8
        .value_kind:     by_value
      - .actual_access:  read_only
        .address_space:  global
        .offset:         48
        .size:           8
        .value_kind:     global_buffer
      - .actual_access:  read_only
        .address_space:  global
        .offset:         56
        .size:           8
        .value_kind:     global_buffer
      - .actual_access:  read_only
        .address_space:  global
        .offset:         64
        .size:           8
        .value_kind:     global_buffer
      - .actual_access:  read_only
        .address_space:  global
        .offset:         72
        .size:           8
        .value_kind:     global_buffer
      - .offset:         80
        .size:           8
        .value_kind:     by_value
      - .offset:         88
        .size:           8
        .value_kind:     by_value
      - .offset:         96
        .size:           8
        .value_kind:     by_value
      - .address_space:  global
        .offset:         104
        .size:           8
        .value_kind:     global_buffer
      - .offset:         112
        .size:           8
        .value_kind:     by_value
      - .offset:         120
        .size:           8
        .value_kind:     by_value
      - .offset:         128
        .size:           4
        .value_kind:     by_value
      - .offset:         132
        .size:           4
        .value_kind:     by_value
      - .offset:         136
        .size:           1
        .value_kind:     by_value
      - .offset:         144
        .size:           4
        .value_kind:     hidden_block_count_x
      - .offset:         148
        .size:           4
        .value_kind:     hidden_block_count_y
      - .offset:         152
        .size:           4
        .value_kind:     hidden_block_count_z
      - .offset:         156
        .size:           2
        .value_kind:     hidden_group_size_x
      - .offset:         158
        .size:           2
        .value_kind:     hidden_group_size_y
      - .offset:         160
        .size:           2
        .value_kind:     hidden_group_size_z
      - .offset:         162
        .size:           2
        .value_kind:     hidden_remainder_x
      - .offset:         164
        .size:           2
        .value_kind:     hidden_remainder_y
      - .offset:         166
        .size:           2
        .value_kind:     hidden_remainder_z
      - .offset:         184
        .size:           8
        .value_kind:     hidden_global_offset_x
      - .offset:         192
        .size:           8
        .value_kind:     hidden_global_offset_y
      - .offset:         200
        .size:           8
        .value_kind:     hidden_global_offset_z
      - .offset:         208
        .size:           2
        .value_kind:     hidden_grid_dims
    .group_segment_fixed_size: 2048
    .kernarg_segment_align: 8
    .kernarg_segment_size: 400
    .language:       OpenCL C
    .language_version:
      - 2
      - 0
    .max_flat_workgroup_size: 64
    .name:           _ZN9rocsparseL29bsrmmnt_small_blockdim_kernelILj64ELj16ELj2Ell21rocsparse_complex_numIfES2_S2_S2_EEv20rocsparse_direction_T3_S4_llNS_24const_host_device_scalarIT7_EEPKT2_PKS4_PKT4_PKT5_llS7_PT6_ll16rocsparse_order_21rocsparse_index_base_b
    .private_segment_fixed_size: 0
    .sgpr_count:     40
    .sgpr_spill_count: 0
    .symbol:         _ZN9rocsparseL29bsrmmnt_small_blockdim_kernelILj64ELj16ELj2Ell21rocsparse_complex_numIfES2_S2_S2_EEv20rocsparse_direction_T3_S4_llNS_24const_host_device_scalarIT7_EEPKT2_PKS4_PKT4_PKT5_llS7_PT6_ll16rocsparse_order_21rocsparse_index_base_b.kd
    .uniform_work_group_size: 1
    .uses_dynamic_stack: false
    .vgpr_count:     54
    .vgpr_spill_count: 0
    .wavefront_size: 64
  - .agpr_count:     0
    .args:
      - .offset:         0
        .size:           4
        .value_kind:     by_value
      - .offset:         8
        .size:           8
        .value_kind:     by_value
      - .offset:         16
        .size:           8
        .value_kind:     by_value
      - .offset:         24
        .size:           8
        .value_kind:     by_value
      - .offset:         32
        .size:           8
        .value_kind:     by_value
      - .offset:         40
        .size:           8
        .value_kind:     by_value
      - .actual_access:  read_only
        .address_space:  global
        .offset:         48
        .size:           8
        .value_kind:     global_buffer
      - .actual_access:  read_only
        .address_space:  global
        .offset:         56
        .size:           8
        .value_kind:     global_buffer
      - .actual_access:  read_only
        .address_space:  global
        .offset:         64
        .size:           8
        .value_kind:     global_buffer
      - .actual_access:  read_only
        .address_space:  global
        .offset:         72
        .size:           8
        .value_kind:     global_buffer
      - .offset:         80
        .size:           8
        .value_kind:     by_value
      - .offset:         88
        .size:           8
        .value_kind:     by_value
      - .offset:         96
        .size:           8
        .value_kind:     by_value
      - .address_space:  global
        .offset:         104
        .size:           8
        .value_kind:     global_buffer
      - .offset:         112
        .size:           8
        .value_kind:     by_value
      - .offset:         120
        .size:           8
        .value_kind:     by_value
      - .offset:         128
        .size:           4
        .value_kind:     by_value
      - .offset:         132
        .size:           4
        .value_kind:     by_value
      - .offset:         136
        .size:           1
        .value_kind:     by_value
      - .offset:         144
        .size:           4
        .value_kind:     hidden_block_count_x
      - .offset:         148
        .size:           4
        .value_kind:     hidden_block_count_y
      - .offset:         152
        .size:           4
        .value_kind:     hidden_block_count_z
      - .offset:         156
        .size:           2
        .value_kind:     hidden_group_size_x
      - .offset:         158
        .size:           2
        .value_kind:     hidden_group_size_y
      - .offset:         160
        .size:           2
        .value_kind:     hidden_group_size_z
      - .offset:         162
        .size:           2
        .value_kind:     hidden_remainder_x
      - .offset:         164
        .size:           2
        .value_kind:     hidden_remainder_y
      - .offset:         166
        .size:           2
        .value_kind:     hidden_remainder_z
      - .offset:         184
        .size:           8
        .value_kind:     hidden_global_offset_x
      - .offset:         192
        .size:           8
        .value_kind:     hidden_global_offset_y
      - .offset:         200
        .size:           8
        .value_kind:     hidden_global_offset_z
      - .offset:         208
        .size:           2
        .value_kind:     hidden_grid_dims
    .group_segment_fixed_size: 2048
    .kernarg_segment_align: 8
    .kernarg_segment_size: 400
    .language:       OpenCL C
    .language_version:
      - 2
      - 0
    .max_flat_workgroup_size: 64
    .name:           _ZN9rocsparseL29bsrmmnt_small_blockdim_kernelILj64ELj32ELj2Ell21rocsparse_complex_numIfES2_S2_S2_EEv20rocsparse_direction_T3_S4_llNS_24const_host_device_scalarIT7_EEPKT2_PKS4_PKT4_PKT5_llS7_PT6_ll16rocsparse_order_21rocsparse_index_base_b
    .private_segment_fixed_size: 0
    .sgpr_count:     40
    .sgpr_spill_count: 0
    .symbol:         _ZN9rocsparseL29bsrmmnt_small_blockdim_kernelILj64ELj32ELj2Ell21rocsparse_complex_numIfES2_S2_S2_EEv20rocsparse_direction_T3_S4_llNS_24const_host_device_scalarIT7_EEPKT2_PKS4_PKT4_PKT5_llS7_PT6_ll16rocsparse_order_21rocsparse_index_base_b.kd
    .uniform_work_group_size: 1
    .uses_dynamic_stack: false
    .vgpr_count:     54
    .vgpr_spill_count: 0
    .wavefront_size: 64
  - .agpr_count:     0
    .args:
      - .offset:         0
        .size:           4
        .value_kind:     by_value
      - .offset:         8
        .size:           8
        .value_kind:     by_value
      - .offset:         16
        .size:           8
        .value_kind:     by_value
      - .offset:         24
        .size:           8
        .value_kind:     by_value
      - .offset:         32
        .size:           8
        .value_kind:     by_value
      - .offset:         40
        .size:           8
        .value_kind:     by_value
      - .actual_access:  read_only
        .address_space:  global
        .offset:         48
        .size:           8
        .value_kind:     global_buffer
      - .actual_access:  read_only
        .address_space:  global
        .offset:         56
        .size:           8
        .value_kind:     global_buffer
      - .actual_access:  read_only
        .address_space:  global
        .offset:         64
        .size:           8
        .value_kind:     global_buffer
      - .actual_access:  read_only
        .address_space:  global
        .offset:         72
        .size:           8
        .value_kind:     global_buffer
      - .offset:         80
        .size:           8
        .value_kind:     by_value
      - .offset:         88
        .size:           8
        .value_kind:     by_value
      - .offset:         96
        .size:           8
        .value_kind:     by_value
      - .address_space:  global
        .offset:         104
        .size:           8
        .value_kind:     global_buffer
      - .offset:         112
        .size:           8
        .value_kind:     by_value
      - .offset:         120
        .size:           8
        .value_kind:     by_value
      - .offset:         128
        .size:           4
        .value_kind:     by_value
      - .offset:         132
        .size:           4
        .value_kind:     by_value
      - .offset:         136
        .size:           1
        .value_kind:     by_value
      - .offset:         144
        .size:           4
        .value_kind:     hidden_block_count_x
      - .offset:         148
        .size:           4
        .value_kind:     hidden_block_count_y
      - .offset:         152
        .size:           4
        .value_kind:     hidden_block_count_z
      - .offset:         156
        .size:           2
        .value_kind:     hidden_group_size_x
      - .offset:         158
        .size:           2
        .value_kind:     hidden_group_size_y
      - .offset:         160
        .size:           2
        .value_kind:     hidden_group_size_z
      - .offset:         162
        .size:           2
        .value_kind:     hidden_remainder_x
      - .offset:         164
        .size:           2
        .value_kind:     hidden_remainder_y
      - .offset:         166
        .size:           2
        .value_kind:     hidden_remainder_z
      - .offset:         184
        .size:           8
        .value_kind:     hidden_global_offset_x
      - .offset:         192
        .size:           8
        .value_kind:     hidden_global_offset_y
      - .offset:         200
        .size:           8
        .value_kind:     hidden_global_offset_z
      - .offset:         208
        .size:           2
        .value_kind:     hidden_grid_dims
    .group_segment_fixed_size: 2048
    .kernarg_segment_align: 8
    .kernarg_segment_size: 400
    .language:       OpenCL C
    .language_version:
      - 2
      - 0
    .max_flat_workgroup_size: 64
    .name:           _ZN9rocsparseL29bsrmmnt_small_blockdim_kernelILj64ELj64ELj2Ell21rocsparse_complex_numIfES2_S2_S2_EEv20rocsparse_direction_T3_S4_llNS_24const_host_device_scalarIT7_EEPKT2_PKS4_PKT4_PKT5_llS7_PT6_ll16rocsparse_order_21rocsparse_index_base_b
    .private_segment_fixed_size: 0
    .sgpr_count:     40
    .sgpr_spill_count: 0
    .symbol:         _ZN9rocsparseL29bsrmmnt_small_blockdim_kernelILj64ELj64ELj2Ell21rocsparse_complex_numIfES2_S2_S2_EEv20rocsparse_direction_T3_S4_llNS_24const_host_device_scalarIT7_EEPKT2_PKS4_PKT4_PKT5_llS7_PT6_ll16rocsparse_order_21rocsparse_index_base_b.kd
    .uniform_work_group_size: 1
    .uses_dynamic_stack: false
    .vgpr_count:     52
    .vgpr_spill_count: 0
    .wavefront_size: 64
  - .agpr_count:     0
    .args:
      - .offset:         0
        .size:           4
        .value_kind:     by_value
      - .offset:         4
        .size:           4
        .value_kind:     by_value
      - .offset:         8
        .size:           4
        .value_kind:     by_value
      - .offset:         16
        .size:           8
        .value_kind:     by_value
      - .offset:         24
        .size:           8
        .value_kind:     by_value
      - .offset:         32
        .size:           16
        .value_kind:     by_value
      - .actual_access:  read_only
        .address_space:  global
        .offset:         48
        .size:           8
        .value_kind:     global_buffer
      - .actual_access:  read_only
        .address_space:  global
        .offset:         56
        .size:           8
        .value_kind:     global_buffer
      - .actual_access:  read_only
        .address_space:  global
        .offset:         64
        .size:           8
        .value_kind:     global_buffer
      - .actual_access:  read_only
        .address_space:  global
        .offset:         72
        .size:           8
        .value_kind:     global_buffer
      - .offset:         80
        .size:           8
        .value_kind:     by_value
      - .offset:         88
        .size:           8
        .value_kind:     by_value
      - .offset:         96
        .size:           16
        .value_kind:     by_value
      - .address_space:  global
        .offset:         112
        .size:           8
        .value_kind:     global_buffer
      - .offset:         120
        .size:           8
        .value_kind:     by_value
      - .offset:         128
        .size:           8
        .value_kind:     by_value
      - .offset:         136
        .size:           4
        .value_kind:     by_value
      - .offset:         140
        .size:           4
        .value_kind:     by_value
      - .offset:         144
        .size:           1
        .value_kind:     by_value
      - .offset:         152
        .size:           4
        .value_kind:     hidden_block_count_x
      - .offset:         156
        .size:           4
        .value_kind:     hidden_block_count_y
      - .offset:         160
        .size:           4
        .value_kind:     hidden_block_count_z
      - .offset:         164
        .size:           2
        .value_kind:     hidden_group_size_x
      - .offset:         166
        .size:           2
        .value_kind:     hidden_group_size_y
      - .offset:         168
        .size:           2
        .value_kind:     hidden_group_size_z
      - .offset:         170
        .size:           2
        .value_kind:     hidden_remainder_x
      - .offset:         172
        .size:           2
        .value_kind:     hidden_remainder_y
      - .offset:         174
        .size:           2
        .value_kind:     hidden_remainder_z
      - .offset:         192
        .size:           8
        .value_kind:     hidden_global_offset_x
      - .offset:         200
        .size:           8
        .value_kind:     hidden_global_offset_y
      - .offset:         208
        .size:           8
        .value_kind:     hidden_global_offset_z
      - .offset:         216
        .size:           2
        .value_kind:     hidden_grid_dims
    .group_segment_fixed_size: 3328
    .kernarg_segment_align: 8
    .kernarg_segment_size: 408
    .language:       OpenCL C
    .language_version:
      - 2
      - 0
    .max_flat_workgroup_size: 64
    .name:           _ZN9rocsparseL29bsrmmnt_small_blockdim_kernelILj64ELj8ELj2Eii21rocsparse_complex_numIdES2_S2_S2_EEv20rocsparse_direction_T3_S4_llNS_24const_host_device_scalarIT7_EEPKT2_PKS4_PKT4_PKT5_llS7_PT6_ll16rocsparse_order_21rocsparse_index_base_b
    .private_segment_fixed_size: 24
    .sgpr_count:     40
    .sgpr_spill_count: 0
    .symbol:         _ZN9rocsparseL29bsrmmnt_small_blockdim_kernelILj64ELj8ELj2Eii21rocsparse_complex_numIdES2_S2_S2_EEv20rocsparse_direction_T3_S4_llNS_24const_host_device_scalarIT7_EEPKT2_PKS4_PKT4_PKT5_llS7_PT6_ll16rocsparse_order_21rocsparse_index_base_b.kd
    .uniform_work_group_size: 1
    .uses_dynamic_stack: false
    .vgpr_count:     72
    .vgpr_spill_count: 0
    .wavefront_size: 64
  - .agpr_count:     0
    .args:
      - .offset:         0
        .size:           4
        .value_kind:     by_value
      - .offset:         4
        .size:           4
        .value_kind:     by_value
      - .offset:         8
        .size:           4
        .value_kind:     by_value
      - .offset:         16
        .size:           8
        .value_kind:     by_value
      - .offset:         24
        .size:           8
        .value_kind:     by_value
      - .offset:         32
        .size:           16
        .value_kind:     by_value
      - .actual_access:  read_only
        .address_space:  global
        .offset:         48
        .size:           8
        .value_kind:     global_buffer
      - .actual_access:  read_only
        .address_space:  global
        .offset:         56
        .size:           8
        .value_kind:     global_buffer
      - .actual_access:  read_only
        .address_space:  global
        .offset:         64
        .size:           8
        .value_kind:     global_buffer
      - .actual_access:  read_only
        .address_space:  global
        .offset:         72
        .size:           8
        .value_kind:     global_buffer
      - .offset:         80
        .size:           8
        .value_kind:     by_value
      - .offset:         88
        .size:           8
        .value_kind:     by_value
      - .offset:         96
        .size:           16
        .value_kind:     by_value
      - .address_space:  global
        .offset:         112
        .size:           8
        .value_kind:     global_buffer
      - .offset:         120
        .size:           8
        .value_kind:     by_value
      - .offset:         128
        .size:           8
        .value_kind:     by_value
      - .offset:         136
        .size:           4
        .value_kind:     by_value
      - .offset:         140
        .size:           4
        .value_kind:     by_value
      - .offset:         144
        .size:           1
        .value_kind:     by_value
      - .offset:         152
        .size:           4
        .value_kind:     hidden_block_count_x
      - .offset:         156
        .size:           4
        .value_kind:     hidden_block_count_y
      - .offset:         160
        .size:           4
        .value_kind:     hidden_block_count_z
      - .offset:         164
        .size:           2
        .value_kind:     hidden_group_size_x
      - .offset:         166
        .size:           2
        .value_kind:     hidden_group_size_y
      - .offset:         168
        .size:           2
        .value_kind:     hidden_group_size_z
      - .offset:         170
        .size:           2
        .value_kind:     hidden_remainder_x
      - .offset:         172
        .size:           2
        .value_kind:     hidden_remainder_y
      - .offset:         174
        .size:           2
        .value_kind:     hidden_remainder_z
      - .offset:         192
        .size:           8
        .value_kind:     hidden_global_offset_x
      - .offset:         200
        .size:           8
        .value_kind:     hidden_global_offset_y
      - .offset:         208
        .size:           8
        .value_kind:     hidden_global_offset_z
      - .offset:         216
        .size:           2
        .value_kind:     hidden_grid_dims
    .group_segment_fixed_size: 3328
    .kernarg_segment_align: 8
    .kernarg_segment_size: 408
    .language:       OpenCL C
    .language_version:
      - 2
      - 0
    .max_flat_workgroup_size: 64
    .name:           _ZN9rocsparseL29bsrmmnt_small_blockdim_kernelILj64ELj16ELj2Eii21rocsparse_complex_numIdES2_S2_S2_EEv20rocsparse_direction_T3_S4_llNS_24const_host_device_scalarIT7_EEPKT2_PKS4_PKT4_PKT5_llS7_PT6_ll16rocsparse_order_21rocsparse_index_base_b
    .private_segment_fixed_size: 24
    .sgpr_count:     40
    .sgpr_spill_count: 0
    .symbol:         _ZN9rocsparseL29bsrmmnt_small_blockdim_kernelILj64ELj16ELj2Eii21rocsparse_complex_numIdES2_S2_S2_EEv20rocsparse_direction_T3_S4_llNS_24const_host_device_scalarIT7_EEPKT2_PKS4_PKT4_PKT5_llS7_PT6_ll16rocsparse_order_21rocsparse_index_base_b.kd
    .uniform_work_group_size: 1
    .uses_dynamic_stack: false
    .vgpr_count:     72
    .vgpr_spill_count: 0
    .wavefront_size: 64
  - .agpr_count:     0
    .args:
      - .offset:         0
        .size:           4
        .value_kind:     by_value
      - .offset:         4
        .size:           4
        .value_kind:     by_value
      - .offset:         8
        .size:           4
        .value_kind:     by_value
      - .offset:         16
        .size:           8
        .value_kind:     by_value
      - .offset:         24
        .size:           8
        .value_kind:     by_value
      - .offset:         32
        .size:           16
        .value_kind:     by_value
      - .actual_access:  read_only
        .address_space:  global
        .offset:         48
        .size:           8
        .value_kind:     global_buffer
      - .actual_access:  read_only
        .address_space:  global
        .offset:         56
        .size:           8
        .value_kind:     global_buffer
      - .actual_access:  read_only
        .address_space:  global
        .offset:         64
        .size:           8
        .value_kind:     global_buffer
      - .actual_access:  read_only
        .address_space:  global
        .offset:         72
        .size:           8
        .value_kind:     global_buffer
      - .offset:         80
        .size:           8
        .value_kind:     by_value
      - .offset:         88
        .size:           8
        .value_kind:     by_value
      - .offset:         96
        .size:           16
        .value_kind:     by_value
      - .address_space:  global
        .offset:         112
        .size:           8
        .value_kind:     global_buffer
      - .offset:         120
        .size:           8
        .value_kind:     by_value
      - .offset:         128
        .size:           8
        .value_kind:     by_value
      - .offset:         136
        .size:           4
        .value_kind:     by_value
      - .offset:         140
        .size:           4
        .value_kind:     by_value
      - .offset:         144
        .size:           1
        .value_kind:     by_value
      - .offset:         152
        .size:           4
        .value_kind:     hidden_block_count_x
      - .offset:         156
        .size:           4
        .value_kind:     hidden_block_count_y
      - .offset:         160
        .size:           4
        .value_kind:     hidden_block_count_z
      - .offset:         164
        .size:           2
        .value_kind:     hidden_group_size_x
      - .offset:         166
        .size:           2
        .value_kind:     hidden_group_size_y
      - .offset:         168
        .size:           2
        .value_kind:     hidden_group_size_z
      - .offset:         170
        .size:           2
        .value_kind:     hidden_remainder_x
      - .offset:         172
        .size:           2
        .value_kind:     hidden_remainder_y
      - .offset:         174
        .size:           2
        .value_kind:     hidden_remainder_z
      - .offset:         192
        .size:           8
        .value_kind:     hidden_global_offset_x
      - .offset:         200
        .size:           8
        .value_kind:     hidden_global_offset_y
      - .offset:         208
        .size:           8
        .value_kind:     hidden_global_offset_z
      - .offset:         216
        .size:           2
        .value_kind:     hidden_grid_dims
    .group_segment_fixed_size: 3328
    .kernarg_segment_align: 8
    .kernarg_segment_size: 408
    .language:       OpenCL C
    .language_version:
      - 2
      - 0
    .max_flat_workgroup_size: 64
    .name:           _ZN9rocsparseL29bsrmmnt_small_blockdim_kernelILj64ELj32ELj2Eii21rocsparse_complex_numIdES2_S2_S2_EEv20rocsparse_direction_T3_S4_llNS_24const_host_device_scalarIT7_EEPKT2_PKS4_PKT4_PKT5_llS7_PT6_ll16rocsparse_order_21rocsparse_index_base_b
    .private_segment_fixed_size: 24
    .sgpr_count:     40
    .sgpr_spill_count: 0
    .symbol:         _ZN9rocsparseL29bsrmmnt_small_blockdim_kernelILj64ELj32ELj2Eii21rocsparse_complex_numIdES2_S2_S2_EEv20rocsparse_direction_T3_S4_llNS_24const_host_device_scalarIT7_EEPKT2_PKS4_PKT4_PKT5_llS7_PT6_ll16rocsparse_order_21rocsparse_index_base_b.kd
    .uniform_work_group_size: 1
    .uses_dynamic_stack: false
    .vgpr_count:     72
    .vgpr_spill_count: 0
    .wavefront_size: 64
  - .agpr_count:     0
    .args:
      - .offset:         0
        .size:           4
        .value_kind:     by_value
      - .offset:         4
        .size:           4
        .value_kind:     by_value
      - .offset:         8
        .size:           4
        .value_kind:     by_value
      - .offset:         16
        .size:           8
        .value_kind:     by_value
      - .offset:         24
        .size:           8
        .value_kind:     by_value
      - .offset:         32
        .size:           16
        .value_kind:     by_value
      - .actual_access:  read_only
        .address_space:  global
        .offset:         48
        .size:           8
        .value_kind:     global_buffer
      - .actual_access:  read_only
        .address_space:  global
        .offset:         56
        .size:           8
        .value_kind:     global_buffer
      - .actual_access:  read_only
        .address_space:  global
        .offset:         64
        .size:           8
        .value_kind:     global_buffer
      - .actual_access:  read_only
        .address_space:  global
        .offset:         72
        .size:           8
        .value_kind:     global_buffer
      - .offset:         80
        .size:           8
        .value_kind:     by_value
      - .offset:         88
        .size:           8
        .value_kind:     by_value
      - .offset:         96
        .size:           16
        .value_kind:     by_value
      - .address_space:  global
        .offset:         112
        .size:           8
        .value_kind:     global_buffer
      - .offset:         120
        .size:           8
        .value_kind:     by_value
      - .offset:         128
        .size:           8
        .value_kind:     by_value
      - .offset:         136
        .size:           4
        .value_kind:     by_value
      - .offset:         140
        .size:           4
        .value_kind:     by_value
      - .offset:         144
        .size:           1
        .value_kind:     by_value
      - .offset:         152
        .size:           4
        .value_kind:     hidden_block_count_x
      - .offset:         156
        .size:           4
        .value_kind:     hidden_block_count_y
      - .offset:         160
        .size:           4
        .value_kind:     hidden_block_count_z
      - .offset:         164
        .size:           2
        .value_kind:     hidden_group_size_x
      - .offset:         166
        .size:           2
        .value_kind:     hidden_group_size_y
      - .offset:         168
        .size:           2
        .value_kind:     hidden_group_size_z
      - .offset:         170
        .size:           2
        .value_kind:     hidden_remainder_x
      - .offset:         172
        .size:           2
        .value_kind:     hidden_remainder_y
      - .offset:         174
        .size:           2
        .value_kind:     hidden_remainder_z
      - .offset:         192
        .size:           8
        .value_kind:     hidden_global_offset_x
      - .offset:         200
        .size:           8
        .value_kind:     hidden_global_offset_y
      - .offset:         208
        .size:           8
        .value_kind:     hidden_global_offset_z
      - .offset:         216
        .size:           2
        .value_kind:     hidden_grid_dims
    .group_segment_fixed_size: 3328
    .kernarg_segment_align: 8
    .kernarg_segment_size: 408
    .language:       OpenCL C
    .language_version:
      - 2
      - 0
    .max_flat_workgroup_size: 64
    .name:           _ZN9rocsparseL29bsrmmnt_small_blockdim_kernelILj64ELj64ELj2Eii21rocsparse_complex_numIdES2_S2_S2_EEv20rocsparse_direction_T3_S4_llNS_24const_host_device_scalarIT7_EEPKT2_PKS4_PKT4_PKT5_llS7_PT6_ll16rocsparse_order_21rocsparse_index_base_b
    .private_segment_fixed_size: 24
    .sgpr_count:     40
    .sgpr_spill_count: 0
    .symbol:         _ZN9rocsparseL29bsrmmnt_small_blockdim_kernelILj64ELj64ELj2Eii21rocsparse_complex_numIdES2_S2_S2_EEv20rocsparse_direction_T3_S4_llNS_24const_host_device_scalarIT7_EEPKT2_PKS4_PKT4_PKT5_llS7_PT6_ll16rocsparse_order_21rocsparse_index_base_b.kd
    .uniform_work_group_size: 1
    .uses_dynamic_stack: false
    .vgpr_count:     70
    .vgpr_spill_count: 0
    .wavefront_size: 64
  - .agpr_count:     0
    .args:
      - .offset:         0
        .size:           4
        .value_kind:     by_value
      - .offset:         4
        .size:           4
        .value_kind:     by_value
      - .offset:         8
        .size:           4
        .value_kind:     by_value
      - .offset:         16
        .size:           8
        .value_kind:     by_value
      - .offset:         24
        .size:           8
        .value_kind:     by_value
      - .offset:         32
        .size:           16
        .value_kind:     by_value
      - .actual_access:  read_only
        .address_space:  global
        .offset:         48
        .size:           8
        .value_kind:     global_buffer
      - .actual_access:  read_only
        .address_space:  global
        .offset:         56
        .size:           8
        .value_kind:     global_buffer
      - .actual_access:  read_only
        .address_space:  global
        .offset:         64
        .size:           8
        .value_kind:     global_buffer
      - .actual_access:  read_only
        .address_space:  global
        .offset:         72
        .size:           8
        .value_kind:     global_buffer
      - .offset:         80
        .size:           8
        .value_kind:     by_value
      - .offset:         88
        .size:           8
        .value_kind:     by_value
      - .offset:         96
        .size:           16
        .value_kind:     by_value
      - .address_space:  global
        .offset:         112
        .size:           8
        .value_kind:     global_buffer
      - .offset:         120
        .size:           8
        .value_kind:     by_value
      - .offset:         128
        .size:           8
        .value_kind:     by_value
      - .offset:         136
        .size:           4
        .value_kind:     by_value
      - .offset:         140
        .size:           4
        .value_kind:     by_value
      - .offset:         144
        .size:           1
        .value_kind:     by_value
      - .offset:         152
        .size:           4
        .value_kind:     hidden_block_count_x
      - .offset:         156
        .size:           4
        .value_kind:     hidden_block_count_y
      - .offset:         160
        .size:           4
        .value_kind:     hidden_block_count_z
      - .offset:         164
        .size:           2
        .value_kind:     hidden_group_size_x
      - .offset:         166
        .size:           2
        .value_kind:     hidden_group_size_y
      - .offset:         168
        .size:           2
        .value_kind:     hidden_group_size_z
      - .offset:         170
        .size:           2
        .value_kind:     hidden_remainder_x
      - .offset:         172
        .size:           2
        .value_kind:     hidden_remainder_y
      - .offset:         174
        .size:           2
        .value_kind:     hidden_remainder_z
      - .offset:         192
        .size:           8
        .value_kind:     hidden_global_offset_x
      - .offset:         200
        .size:           8
        .value_kind:     hidden_global_offset_y
      - .offset:         208
        .size:           8
        .value_kind:     hidden_global_offset_z
      - .offset:         216
        .size:           2
        .value_kind:     hidden_grid_dims
    .group_segment_fixed_size: 3328
    .kernarg_segment_align: 8
    .kernarg_segment_size: 408
    .language:       OpenCL C
    .language_version:
      - 2
      - 0
    .max_flat_workgroup_size: 64
    .name:           _ZN9rocsparseL29bsrmmnt_small_blockdim_kernelILj64ELj8ELj2Eli21rocsparse_complex_numIdES2_S2_S2_EEv20rocsparse_direction_T3_S4_llNS_24const_host_device_scalarIT7_EEPKT2_PKS4_PKT4_PKT5_llS7_PT6_ll16rocsparse_order_21rocsparse_index_base_b
    .private_segment_fixed_size: 24
    .sgpr_count:     40
    .sgpr_spill_count: 0
    .symbol:         _ZN9rocsparseL29bsrmmnt_small_blockdim_kernelILj64ELj8ELj2Eli21rocsparse_complex_numIdES2_S2_S2_EEv20rocsparse_direction_T3_S4_llNS_24const_host_device_scalarIT7_EEPKT2_PKS4_PKT4_PKT5_llS7_PT6_ll16rocsparse_order_21rocsparse_index_base_b.kd
    .uniform_work_group_size: 1
    .uses_dynamic_stack: false
    .vgpr_count:     72
    .vgpr_spill_count: 0
    .wavefront_size: 64
  - .agpr_count:     0
    .args:
      - .offset:         0
        .size:           4
        .value_kind:     by_value
      - .offset:         4
        .size:           4
        .value_kind:     by_value
      - .offset:         8
        .size:           4
        .value_kind:     by_value
      - .offset:         16
        .size:           8
        .value_kind:     by_value
      - .offset:         24
        .size:           8
        .value_kind:     by_value
      - .offset:         32
        .size:           16
        .value_kind:     by_value
      - .actual_access:  read_only
        .address_space:  global
        .offset:         48
        .size:           8
        .value_kind:     global_buffer
      - .actual_access:  read_only
        .address_space:  global
        .offset:         56
        .size:           8
        .value_kind:     global_buffer
      - .actual_access:  read_only
        .address_space:  global
        .offset:         64
        .size:           8
        .value_kind:     global_buffer
      - .actual_access:  read_only
        .address_space:  global
        .offset:         72
        .size:           8
        .value_kind:     global_buffer
      - .offset:         80
        .size:           8
        .value_kind:     by_value
      - .offset:         88
        .size:           8
        .value_kind:     by_value
      - .offset:         96
        .size:           16
        .value_kind:     by_value
      - .address_space:  global
        .offset:         112
        .size:           8
        .value_kind:     global_buffer
      - .offset:         120
        .size:           8
        .value_kind:     by_value
      - .offset:         128
        .size:           8
        .value_kind:     by_value
      - .offset:         136
        .size:           4
        .value_kind:     by_value
      - .offset:         140
        .size:           4
        .value_kind:     by_value
      - .offset:         144
        .size:           1
        .value_kind:     by_value
      - .offset:         152
        .size:           4
        .value_kind:     hidden_block_count_x
      - .offset:         156
        .size:           4
        .value_kind:     hidden_block_count_y
      - .offset:         160
        .size:           4
        .value_kind:     hidden_block_count_z
      - .offset:         164
        .size:           2
        .value_kind:     hidden_group_size_x
      - .offset:         166
        .size:           2
        .value_kind:     hidden_group_size_y
      - .offset:         168
        .size:           2
        .value_kind:     hidden_group_size_z
      - .offset:         170
        .size:           2
        .value_kind:     hidden_remainder_x
      - .offset:         172
        .size:           2
        .value_kind:     hidden_remainder_y
      - .offset:         174
        .size:           2
        .value_kind:     hidden_remainder_z
      - .offset:         192
        .size:           8
        .value_kind:     hidden_global_offset_x
      - .offset:         200
        .size:           8
        .value_kind:     hidden_global_offset_y
      - .offset:         208
        .size:           8
        .value_kind:     hidden_global_offset_z
      - .offset:         216
        .size:           2
        .value_kind:     hidden_grid_dims
    .group_segment_fixed_size: 3328
    .kernarg_segment_align: 8
    .kernarg_segment_size: 408
    .language:       OpenCL C
    .language_version:
      - 2
      - 0
    .max_flat_workgroup_size: 64
    .name:           _ZN9rocsparseL29bsrmmnt_small_blockdim_kernelILj64ELj16ELj2Eli21rocsparse_complex_numIdES2_S2_S2_EEv20rocsparse_direction_T3_S4_llNS_24const_host_device_scalarIT7_EEPKT2_PKS4_PKT4_PKT5_llS7_PT6_ll16rocsparse_order_21rocsparse_index_base_b
    .private_segment_fixed_size: 24
    .sgpr_count:     40
    .sgpr_spill_count: 0
    .symbol:         _ZN9rocsparseL29bsrmmnt_small_blockdim_kernelILj64ELj16ELj2Eli21rocsparse_complex_numIdES2_S2_S2_EEv20rocsparse_direction_T3_S4_llNS_24const_host_device_scalarIT7_EEPKT2_PKS4_PKT4_PKT5_llS7_PT6_ll16rocsparse_order_21rocsparse_index_base_b.kd
    .uniform_work_group_size: 1
    .uses_dynamic_stack: false
    .vgpr_count:     72
    .vgpr_spill_count: 0
    .wavefront_size: 64
  - .agpr_count:     0
    .args:
      - .offset:         0
        .size:           4
        .value_kind:     by_value
      - .offset:         4
        .size:           4
        .value_kind:     by_value
      - .offset:         8
        .size:           4
        .value_kind:     by_value
      - .offset:         16
        .size:           8
        .value_kind:     by_value
      - .offset:         24
        .size:           8
        .value_kind:     by_value
      - .offset:         32
        .size:           16
        .value_kind:     by_value
      - .actual_access:  read_only
        .address_space:  global
        .offset:         48
        .size:           8
        .value_kind:     global_buffer
      - .actual_access:  read_only
        .address_space:  global
        .offset:         56
        .size:           8
        .value_kind:     global_buffer
      - .actual_access:  read_only
        .address_space:  global
        .offset:         64
        .size:           8
        .value_kind:     global_buffer
      - .actual_access:  read_only
        .address_space:  global
        .offset:         72
        .size:           8
        .value_kind:     global_buffer
      - .offset:         80
        .size:           8
        .value_kind:     by_value
      - .offset:         88
        .size:           8
        .value_kind:     by_value
      - .offset:         96
        .size:           16
        .value_kind:     by_value
      - .address_space:  global
        .offset:         112
        .size:           8
        .value_kind:     global_buffer
      - .offset:         120
        .size:           8
        .value_kind:     by_value
      - .offset:         128
        .size:           8
        .value_kind:     by_value
      - .offset:         136
        .size:           4
        .value_kind:     by_value
      - .offset:         140
        .size:           4
        .value_kind:     by_value
      - .offset:         144
        .size:           1
        .value_kind:     by_value
      - .offset:         152
        .size:           4
        .value_kind:     hidden_block_count_x
      - .offset:         156
        .size:           4
        .value_kind:     hidden_block_count_y
      - .offset:         160
        .size:           4
        .value_kind:     hidden_block_count_z
      - .offset:         164
        .size:           2
        .value_kind:     hidden_group_size_x
      - .offset:         166
        .size:           2
        .value_kind:     hidden_group_size_y
      - .offset:         168
        .size:           2
        .value_kind:     hidden_group_size_z
      - .offset:         170
        .size:           2
        .value_kind:     hidden_remainder_x
      - .offset:         172
        .size:           2
        .value_kind:     hidden_remainder_y
      - .offset:         174
        .size:           2
        .value_kind:     hidden_remainder_z
      - .offset:         192
        .size:           8
        .value_kind:     hidden_global_offset_x
      - .offset:         200
        .size:           8
        .value_kind:     hidden_global_offset_y
      - .offset:         208
        .size:           8
        .value_kind:     hidden_global_offset_z
      - .offset:         216
        .size:           2
        .value_kind:     hidden_grid_dims
    .group_segment_fixed_size: 3328
    .kernarg_segment_align: 8
    .kernarg_segment_size: 408
    .language:       OpenCL C
    .language_version:
      - 2
      - 0
    .max_flat_workgroup_size: 64
    .name:           _ZN9rocsparseL29bsrmmnt_small_blockdim_kernelILj64ELj32ELj2Eli21rocsparse_complex_numIdES2_S2_S2_EEv20rocsparse_direction_T3_S4_llNS_24const_host_device_scalarIT7_EEPKT2_PKS4_PKT4_PKT5_llS7_PT6_ll16rocsparse_order_21rocsparse_index_base_b
    .private_segment_fixed_size: 24
    .sgpr_count:     40
    .sgpr_spill_count: 0
    .symbol:         _ZN9rocsparseL29bsrmmnt_small_blockdim_kernelILj64ELj32ELj2Eli21rocsparse_complex_numIdES2_S2_S2_EEv20rocsparse_direction_T3_S4_llNS_24const_host_device_scalarIT7_EEPKT2_PKS4_PKT4_PKT5_llS7_PT6_ll16rocsparse_order_21rocsparse_index_base_b.kd
    .uniform_work_group_size: 1
    .uses_dynamic_stack: false
    .vgpr_count:     72
    .vgpr_spill_count: 0
    .wavefront_size: 64
  - .agpr_count:     0
    .args:
      - .offset:         0
        .size:           4
        .value_kind:     by_value
      - .offset:         4
        .size:           4
        .value_kind:     by_value
      - .offset:         8
        .size:           4
        .value_kind:     by_value
      - .offset:         16
        .size:           8
        .value_kind:     by_value
      - .offset:         24
        .size:           8
        .value_kind:     by_value
      - .offset:         32
        .size:           16
        .value_kind:     by_value
      - .actual_access:  read_only
        .address_space:  global
        .offset:         48
        .size:           8
        .value_kind:     global_buffer
      - .actual_access:  read_only
        .address_space:  global
        .offset:         56
        .size:           8
        .value_kind:     global_buffer
      - .actual_access:  read_only
        .address_space:  global
        .offset:         64
        .size:           8
        .value_kind:     global_buffer
      - .actual_access:  read_only
        .address_space:  global
        .offset:         72
        .size:           8
        .value_kind:     global_buffer
      - .offset:         80
        .size:           8
        .value_kind:     by_value
      - .offset:         88
        .size:           8
        .value_kind:     by_value
      - .offset:         96
        .size:           16
        .value_kind:     by_value
      - .address_space:  global
        .offset:         112
        .size:           8
        .value_kind:     global_buffer
      - .offset:         120
        .size:           8
        .value_kind:     by_value
      - .offset:         128
        .size:           8
        .value_kind:     by_value
      - .offset:         136
        .size:           4
        .value_kind:     by_value
      - .offset:         140
        .size:           4
        .value_kind:     by_value
      - .offset:         144
        .size:           1
        .value_kind:     by_value
      - .offset:         152
        .size:           4
        .value_kind:     hidden_block_count_x
      - .offset:         156
        .size:           4
        .value_kind:     hidden_block_count_y
      - .offset:         160
        .size:           4
        .value_kind:     hidden_block_count_z
      - .offset:         164
        .size:           2
        .value_kind:     hidden_group_size_x
      - .offset:         166
        .size:           2
        .value_kind:     hidden_group_size_y
      - .offset:         168
        .size:           2
        .value_kind:     hidden_group_size_z
      - .offset:         170
        .size:           2
        .value_kind:     hidden_remainder_x
      - .offset:         172
        .size:           2
        .value_kind:     hidden_remainder_y
      - .offset:         174
        .size:           2
        .value_kind:     hidden_remainder_z
      - .offset:         192
        .size:           8
        .value_kind:     hidden_global_offset_x
      - .offset:         200
        .size:           8
        .value_kind:     hidden_global_offset_y
      - .offset:         208
        .size:           8
        .value_kind:     hidden_global_offset_z
      - .offset:         216
        .size:           2
        .value_kind:     hidden_grid_dims
    .group_segment_fixed_size: 3328
    .kernarg_segment_align: 8
    .kernarg_segment_size: 408
    .language:       OpenCL C
    .language_version:
      - 2
      - 0
    .max_flat_workgroup_size: 64
    .name:           _ZN9rocsparseL29bsrmmnt_small_blockdim_kernelILj64ELj64ELj2Eli21rocsparse_complex_numIdES2_S2_S2_EEv20rocsparse_direction_T3_S4_llNS_24const_host_device_scalarIT7_EEPKT2_PKS4_PKT4_PKT5_llS7_PT6_ll16rocsparse_order_21rocsparse_index_base_b
    .private_segment_fixed_size: 24
    .sgpr_count:     40
    .sgpr_spill_count: 0
    .symbol:         _ZN9rocsparseL29bsrmmnt_small_blockdim_kernelILj64ELj64ELj2Eli21rocsparse_complex_numIdES2_S2_S2_EEv20rocsparse_direction_T3_S4_llNS_24const_host_device_scalarIT7_EEPKT2_PKS4_PKT4_PKT5_llS7_PT6_ll16rocsparse_order_21rocsparse_index_base_b.kd
    .uniform_work_group_size: 1
    .uses_dynamic_stack: false
    .vgpr_count:     72
    .vgpr_spill_count: 0
    .wavefront_size: 64
  - .agpr_count:     0
    .args:
      - .offset:         0
        .size:           4
        .value_kind:     by_value
      - .offset:         8
        .size:           8
        .value_kind:     by_value
      - .offset:         16
        .size:           8
        .value_kind:     by_value
      - .offset:         24
        .size:           8
        .value_kind:     by_value
      - .offset:         32
        .size:           8
        .value_kind:     by_value
      - .offset:         40
        .size:           16
        .value_kind:     by_value
      - .actual_access:  read_only
        .address_space:  global
        .offset:         56
        .size:           8
        .value_kind:     global_buffer
      - .actual_access:  read_only
        .address_space:  global
        .offset:         64
        .size:           8
        .value_kind:     global_buffer
      - .actual_access:  read_only
        .address_space:  global
        .offset:         72
        .size:           8
        .value_kind:     global_buffer
      - .actual_access:  read_only
        .address_space:  global
        .offset:         80
        .size:           8
        .value_kind:     global_buffer
      - .offset:         88
        .size:           8
        .value_kind:     by_value
      - .offset:         96
        .size:           8
        .value_kind:     by_value
      - .offset:         104
        .size:           16
        .value_kind:     by_value
      - .address_space:  global
        .offset:         120
        .size:           8
        .value_kind:     global_buffer
      - .offset:         128
        .size:           8
        .value_kind:     by_value
      - .offset:         136
        .size:           8
        .value_kind:     by_value
      - .offset:         144
        .size:           4
        .value_kind:     by_value
      - .offset:         148
        .size:           4
        .value_kind:     by_value
      - .offset:         152
        .size:           1
        .value_kind:     by_value
      - .offset:         160
        .size:           4
        .value_kind:     hidden_block_count_x
      - .offset:         164
        .size:           4
        .value_kind:     hidden_block_count_y
      - .offset:         168
        .size:           4
        .value_kind:     hidden_block_count_z
      - .offset:         172
        .size:           2
        .value_kind:     hidden_group_size_x
      - .offset:         174
        .size:           2
        .value_kind:     hidden_group_size_y
      - .offset:         176
        .size:           2
        .value_kind:     hidden_group_size_z
      - .offset:         178
        .size:           2
        .value_kind:     hidden_remainder_x
      - .offset:         180
        .size:           2
        .value_kind:     hidden_remainder_y
      - .offset:         182
        .size:           2
        .value_kind:     hidden_remainder_z
      - .offset:         200
        .size:           8
        .value_kind:     hidden_global_offset_x
      - .offset:         208
        .size:           8
        .value_kind:     hidden_global_offset_y
      - .offset:         216
        .size:           8
        .value_kind:     hidden_global_offset_z
      - .offset:         224
        .size:           2
        .value_kind:     hidden_grid_dims
    .group_segment_fixed_size: 3584
    .kernarg_segment_align: 8
    .kernarg_segment_size: 416
    .language:       OpenCL C
    .language_version:
      - 2
      - 0
    .max_flat_workgroup_size: 64
    .name:           _ZN9rocsparseL29bsrmmnt_small_blockdim_kernelILj64ELj8ELj2Ell21rocsparse_complex_numIdES2_S2_S2_EEv20rocsparse_direction_T3_S4_llNS_24const_host_device_scalarIT7_EEPKT2_PKS4_PKT4_PKT5_llS7_PT6_ll16rocsparse_order_21rocsparse_index_base_b
    .private_segment_fixed_size: 24
    .sgpr_count:     45
    .sgpr_spill_count: 0
    .symbol:         _ZN9rocsparseL29bsrmmnt_small_blockdim_kernelILj64ELj8ELj2Ell21rocsparse_complex_numIdES2_S2_S2_EEv20rocsparse_direction_T3_S4_llNS_24const_host_device_scalarIT7_EEPKT2_PKS4_PKT4_PKT5_llS7_PT6_ll16rocsparse_order_21rocsparse_index_base_b.kd
    .uniform_work_group_size: 1
    .uses_dynamic_stack: false
    .vgpr_count:     72
    .vgpr_spill_count: 0
    .wavefront_size: 64
  - .agpr_count:     0
    .args:
      - .offset:         0
        .size:           4
        .value_kind:     by_value
      - .offset:         8
        .size:           8
        .value_kind:     by_value
      - .offset:         16
        .size:           8
        .value_kind:     by_value
      - .offset:         24
        .size:           8
        .value_kind:     by_value
      - .offset:         32
        .size:           8
        .value_kind:     by_value
      - .offset:         40
        .size:           16
        .value_kind:     by_value
      - .actual_access:  read_only
        .address_space:  global
        .offset:         56
        .size:           8
        .value_kind:     global_buffer
      - .actual_access:  read_only
        .address_space:  global
        .offset:         64
        .size:           8
        .value_kind:     global_buffer
      - .actual_access:  read_only
        .address_space:  global
        .offset:         72
        .size:           8
        .value_kind:     global_buffer
      - .actual_access:  read_only
        .address_space:  global
        .offset:         80
        .size:           8
        .value_kind:     global_buffer
      - .offset:         88
        .size:           8
        .value_kind:     by_value
      - .offset:         96
        .size:           8
        .value_kind:     by_value
      - .offset:         104
        .size:           16
        .value_kind:     by_value
      - .address_space:  global
        .offset:         120
        .size:           8
        .value_kind:     global_buffer
      - .offset:         128
        .size:           8
        .value_kind:     by_value
      - .offset:         136
        .size:           8
        .value_kind:     by_value
      - .offset:         144
        .size:           4
        .value_kind:     by_value
      - .offset:         148
        .size:           4
        .value_kind:     by_value
      - .offset:         152
        .size:           1
        .value_kind:     by_value
      - .offset:         160
        .size:           4
        .value_kind:     hidden_block_count_x
      - .offset:         164
        .size:           4
        .value_kind:     hidden_block_count_y
      - .offset:         168
        .size:           4
        .value_kind:     hidden_block_count_z
      - .offset:         172
        .size:           2
        .value_kind:     hidden_group_size_x
      - .offset:         174
        .size:           2
        .value_kind:     hidden_group_size_y
      - .offset:         176
        .size:           2
        .value_kind:     hidden_group_size_z
      - .offset:         178
        .size:           2
        .value_kind:     hidden_remainder_x
      - .offset:         180
        .size:           2
        .value_kind:     hidden_remainder_y
      - .offset:         182
        .size:           2
        .value_kind:     hidden_remainder_z
      - .offset:         200
        .size:           8
        .value_kind:     hidden_global_offset_x
      - .offset:         208
        .size:           8
        .value_kind:     hidden_global_offset_y
      - .offset:         216
        .size:           8
        .value_kind:     hidden_global_offset_z
      - .offset:         224
        .size:           2
        .value_kind:     hidden_grid_dims
    .group_segment_fixed_size: 3584
    .kernarg_segment_align: 8
    .kernarg_segment_size: 416
    .language:       OpenCL C
    .language_version:
      - 2
      - 0
    .max_flat_workgroup_size: 64
    .name:           _ZN9rocsparseL29bsrmmnt_small_blockdim_kernelILj64ELj16ELj2Ell21rocsparse_complex_numIdES2_S2_S2_EEv20rocsparse_direction_T3_S4_llNS_24const_host_device_scalarIT7_EEPKT2_PKS4_PKT4_PKT5_llS7_PT6_ll16rocsparse_order_21rocsparse_index_base_b
    .private_segment_fixed_size: 24
    .sgpr_count:     45
    .sgpr_spill_count: 0
    .symbol:         _ZN9rocsparseL29bsrmmnt_small_blockdim_kernelILj64ELj16ELj2Ell21rocsparse_complex_numIdES2_S2_S2_EEv20rocsparse_direction_T3_S4_llNS_24const_host_device_scalarIT7_EEPKT2_PKS4_PKT4_PKT5_llS7_PT6_ll16rocsparse_order_21rocsparse_index_base_b.kd
    .uniform_work_group_size: 1
    .uses_dynamic_stack: false
    .vgpr_count:     72
    .vgpr_spill_count: 0
    .wavefront_size: 64
  - .agpr_count:     0
    .args:
      - .offset:         0
        .size:           4
        .value_kind:     by_value
      - .offset:         8
        .size:           8
        .value_kind:     by_value
      - .offset:         16
        .size:           8
        .value_kind:     by_value
      - .offset:         24
        .size:           8
        .value_kind:     by_value
      - .offset:         32
        .size:           8
        .value_kind:     by_value
      - .offset:         40
        .size:           16
        .value_kind:     by_value
      - .actual_access:  read_only
        .address_space:  global
        .offset:         56
        .size:           8
        .value_kind:     global_buffer
      - .actual_access:  read_only
        .address_space:  global
        .offset:         64
        .size:           8
        .value_kind:     global_buffer
      - .actual_access:  read_only
        .address_space:  global
        .offset:         72
        .size:           8
        .value_kind:     global_buffer
      - .actual_access:  read_only
        .address_space:  global
        .offset:         80
        .size:           8
        .value_kind:     global_buffer
      - .offset:         88
        .size:           8
        .value_kind:     by_value
      - .offset:         96
        .size:           8
        .value_kind:     by_value
      - .offset:         104
        .size:           16
        .value_kind:     by_value
      - .address_space:  global
        .offset:         120
        .size:           8
        .value_kind:     global_buffer
      - .offset:         128
        .size:           8
        .value_kind:     by_value
      - .offset:         136
        .size:           8
        .value_kind:     by_value
      - .offset:         144
        .size:           4
        .value_kind:     by_value
      - .offset:         148
        .size:           4
        .value_kind:     by_value
      - .offset:         152
        .size:           1
        .value_kind:     by_value
      - .offset:         160
        .size:           4
        .value_kind:     hidden_block_count_x
      - .offset:         164
        .size:           4
        .value_kind:     hidden_block_count_y
      - .offset:         168
        .size:           4
        .value_kind:     hidden_block_count_z
      - .offset:         172
        .size:           2
        .value_kind:     hidden_group_size_x
      - .offset:         174
        .size:           2
        .value_kind:     hidden_group_size_y
      - .offset:         176
        .size:           2
        .value_kind:     hidden_group_size_z
      - .offset:         178
        .size:           2
        .value_kind:     hidden_remainder_x
      - .offset:         180
        .size:           2
        .value_kind:     hidden_remainder_y
      - .offset:         182
        .size:           2
        .value_kind:     hidden_remainder_z
      - .offset:         200
        .size:           8
        .value_kind:     hidden_global_offset_x
      - .offset:         208
        .size:           8
        .value_kind:     hidden_global_offset_y
      - .offset:         216
        .size:           8
        .value_kind:     hidden_global_offset_z
      - .offset:         224
        .size:           2
        .value_kind:     hidden_grid_dims
    .group_segment_fixed_size: 3584
    .kernarg_segment_align: 8
    .kernarg_segment_size: 416
    .language:       OpenCL C
    .language_version:
      - 2
      - 0
    .max_flat_workgroup_size: 64
    .name:           _ZN9rocsparseL29bsrmmnt_small_blockdim_kernelILj64ELj32ELj2Ell21rocsparse_complex_numIdES2_S2_S2_EEv20rocsparse_direction_T3_S4_llNS_24const_host_device_scalarIT7_EEPKT2_PKS4_PKT4_PKT5_llS7_PT6_ll16rocsparse_order_21rocsparse_index_base_b
    .private_segment_fixed_size: 24
    .sgpr_count:     45
    .sgpr_spill_count: 0
    .symbol:         _ZN9rocsparseL29bsrmmnt_small_blockdim_kernelILj64ELj32ELj2Ell21rocsparse_complex_numIdES2_S2_S2_EEv20rocsparse_direction_T3_S4_llNS_24const_host_device_scalarIT7_EEPKT2_PKS4_PKT4_PKT5_llS7_PT6_ll16rocsparse_order_21rocsparse_index_base_b.kd
    .uniform_work_group_size: 1
    .uses_dynamic_stack: false
    .vgpr_count:     72
    .vgpr_spill_count: 0
    .wavefront_size: 64
  - .agpr_count:     0
    .args:
      - .offset:         0
        .size:           4
        .value_kind:     by_value
      - .offset:         8
        .size:           8
        .value_kind:     by_value
      - .offset:         16
        .size:           8
        .value_kind:     by_value
      - .offset:         24
        .size:           8
        .value_kind:     by_value
      - .offset:         32
        .size:           8
        .value_kind:     by_value
      - .offset:         40
        .size:           16
        .value_kind:     by_value
      - .actual_access:  read_only
        .address_space:  global
        .offset:         56
        .size:           8
        .value_kind:     global_buffer
      - .actual_access:  read_only
        .address_space:  global
        .offset:         64
        .size:           8
        .value_kind:     global_buffer
      - .actual_access:  read_only
        .address_space:  global
        .offset:         72
        .size:           8
        .value_kind:     global_buffer
      - .actual_access:  read_only
        .address_space:  global
        .offset:         80
        .size:           8
        .value_kind:     global_buffer
      - .offset:         88
        .size:           8
        .value_kind:     by_value
      - .offset:         96
        .size:           8
        .value_kind:     by_value
      - .offset:         104
        .size:           16
        .value_kind:     by_value
      - .address_space:  global
        .offset:         120
        .size:           8
        .value_kind:     global_buffer
      - .offset:         128
        .size:           8
        .value_kind:     by_value
      - .offset:         136
        .size:           8
        .value_kind:     by_value
      - .offset:         144
        .size:           4
        .value_kind:     by_value
      - .offset:         148
        .size:           4
        .value_kind:     by_value
      - .offset:         152
        .size:           1
        .value_kind:     by_value
      - .offset:         160
        .size:           4
        .value_kind:     hidden_block_count_x
      - .offset:         164
        .size:           4
        .value_kind:     hidden_block_count_y
      - .offset:         168
        .size:           4
        .value_kind:     hidden_block_count_z
      - .offset:         172
        .size:           2
        .value_kind:     hidden_group_size_x
      - .offset:         174
        .size:           2
        .value_kind:     hidden_group_size_y
      - .offset:         176
        .size:           2
        .value_kind:     hidden_group_size_z
      - .offset:         178
        .size:           2
        .value_kind:     hidden_remainder_x
      - .offset:         180
        .size:           2
        .value_kind:     hidden_remainder_y
      - .offset:         182
        .size:           2
        .value_kind:     hidden_remainder_z
      - .offset:         200
        .size:           8
        .value_kind:     hidden_global_offset_x
      - .offset:         208
        .size:           8
        .value_kind:     hidden_global_offset_y
      - .offset:         216
        .size:           8
        .value_kind:     hidden_global_offset_z
      - .offset:         224
        .size:           2
        .value_kind:     hidden_grid_dims
    .group_segment_fixed_size: 3584
    .kernarg_segment_align: 8
    .kernarg_segment_size: 416
    .language:       OpenCL C
    .language_version:
      - 2
      - 0
    .max_flat_workgroup_size: 64
    .name:           _ZN9rocsparseL29bsrmmnt_small_blockdim_kernelILj64ELj64ELj2Ell21rocsparse_complex_numIdES2_S2_S2_EEv20rocsparse_direction_T3_S4_llNS_24const_host_device_scalarIT7_EEPKT2_PKS4_PKT4_PKT5_llS7_PT6_ll16rocsparse_order_21rocsparse_index_base_b
    .private_segment_fixed_size: 24
    .sgpr_count:     45
    .sgpr_spill_count: 0
    .symbol:         _ZN9rocsparseL29bsrmmnt_small_blockdim_kernelILj64ELj64ELj2Ell21rocsparse_complex_numIdES2_S2_S2_EEv20rocsparse_direction_T3_S4_llNS_24const_host_device_scalarIT7_EEPKT2_PKS4_PKT4_PKT5_llS7_PT6_ll16rocsparse_order_21rocsparse_index_base_b.kd
    .uniform_work_group_size: 1
    .uses_dynamic_stack: false
    .vgpr_count:     70
    .vgpr_spill_count: 0
    .wavefront_size: 64
  - .agpr_count:     0
    .args:
      - .offset:         0
        .size:           4
        .value_kind:     by_value
      - .offset:         4
        .size:           4
        .value_kind:     by_value
      - .offset:         8
        .size:           4
        .value_kind:     by_value
      - .offset:         16
        .size:           8
        .value_kind:     by_value
      - .offset:         24
        .size:           8
        .value_kind:     by_value
      - .offset:         32
        .size:           8
        .value_kind:     by_value
      - .actual_access:  read_only
        .address_space:  global
        .offset:         40
        .size:           8
        .value_kind:     global_buffer
      - .actual_access:  read_only
        .address_space:  global
        .offset:         48
        .size:           8
        .value_kind:     global_buffer
      - .actual_access:  read_only
        .address_space:  global
        .offset:         56
        .size:           8
        .value_kind:     global_buffer
      - .actual_access:  read_only
        .address_space:  global
        .offset:         64
        .size:           8
        .value_kind:     global_buffer
      - .offset:         72
        .size:           8
        .value_kind:     by_value
      - .offset:         80
        .size:           8
        .value_kind:     by_value
      - .offset:         88
        .size:           8
        .value_kind:     by_value
      - .address_space:  global
        .offset:         96
        .size:           8
        .value_kind:     global_buffer
      - .offset:         104
        .size:           8
        .value_kind:     by_value
      - .offset:         112
        .size:           8
        .value_kind:     by_value
      - .offset:         120
        .size:           4
        .value_kind:     by_value
      - .offset:         124
        .size:           4
        .value_kind:     by_value
      - .offset:         128
        .size:           1
        .value_kind:     by_value
      - .offset:         136
        .size:           4
        .value_kind:     hidden_block_count_x
      - .offset:         140
        .size:           4
        .value_kind:     hidden_block_count_y
      - .offset:         144
        .size:           4
        .value_kind:     hidden_block_count_z
      - .offset:         148
        .size:           2
        .value_kind:     hidden_group_size_x
      - .offset:         150
        .size:           2
        .value_kind:     hidden_group_size_y
      - .offset:         152
        .size:           2
        .value_kind:     hidden_group_size_z
      - .offset:         154
        .size:           2
        .value_kind:     hidden_remainder_x
      - .offset:         156
        .size:           2
        .value_kind:     hidden_remainder_y
      - .offset:         158
        .size:           2
        .value_kind:     hidden_remainder_z
      - .offset:         176
        .size:           8
        .value_kind:     hidden_global_offset_x
      - .offset:         184
        .size:           8
        .value_kind:     hidden_global_offset_y
      - .offset:         192
        .size:           8
        .value_kind:     hidden_global_offset_z
      - .offset:         200
        .size:           2
        .value_kind:     hidden_grid_dims
    .group_segment_fixed_size: 640
    .kernarg_segment_align: 8
    .kernarg_segment_size: 392
    .language:       OpenCL C
    .language_version:
      - 2
      - 0
    .max_flat_workgroup_size: 64
    .name:           _ZN9rocsparseL29bsrmmnt_small_blockdim_kernelILj64ELj8ELj2EiiDF16_DF16_ffEEv20rocsparse_direction_T3_S2_llNS_24const_host_device_scalarIT7_EEPKT2_PKS2_PKT4_PKT5_llS5_PT6_ll16rocsparse_order_21rocsparse_index_base_b
    .private_segment_fixed_size: 0
    .sgpr_count:     36
    .sgpr_spill_count: 0
    .symbol:         _ZN9rocsparseL29bsrmmnt_small_blockdim_kernelILj64ELj8ELj2EiiDF16_DF16_ffEEv20rocsparse_direction_T3_S2_llNS_24const_host_device_scalarIT7_EEPKT2_PKS2_PKT4_PKT5_llS5_PT6_ll16rocsparse_order_21rocsparse_index_base_b.kd
    .uniform_work_group_size: 1
    .uses_dynamic_stack: false
    .vgpr_count:     37
    .vgpr_spill_count: 0
    .wavefront_size: 64
  - .agpr_count:     0
    .args:
      - .offset:         0
        .size:           4
        .value_kind:     by_value
      - .offset:         4
        .size:           4
        .value_kind:     by_value
      - .offset:         8
        .size:           4
        .value_kind:     by_value
      - .offset:         16
        .size:           8
        .value_kind:     by_value
      - .offset:         24
        .size:           8
        .value_kind:     by_value
      - .offset:         32
        .size:           8
        .value_kind:     by_value
      - .actual_access:  read_only
        .address_space:  global
        .offset:         40
        .size:           8
        .value_kind:     global_buffer
      - .actual_access:  read_only
        .address_space:  global
        .offset:         48
        .size:           8
        .value_kind:     global_buffer
      - .actual_access:  read_only
        .address_space:  global
        .offset:         56
        .size:           8
        .value_kind:     global_buffer
      - .actual_access:  read_only
        .address_space:  global
        .offset:         64
        .size:           8
        .value_kind:     global_buffer
      - .offset:         72
        .size:           8
        .value_kind:     by_value
      - .offset:         80
        .size:           8
        .value_kind:     by_value
      - .offset:         88
        .size:           8
        .value_kind:     by_value
      - .address_space:  global
        .offset:         96
        .size:           8
        .value_kind:     global_buffer
      - .offset:         104
        .size:           8
        .value_kind:     by_value
      - .offset:         112
        .size:           8
        .value_kind:     by_value
      - .offset:         120
        .size:           4
        .value_kind:     by_value
      - .offset:         124
        .size:           4
        .value_kind:     by_value
      - .offset:         128
        .size:           1
        .value_kind:     by_value
      - .offset:         136
        .size:           4
        .value_kind:     hidden_block_count_x
      - .offset:         140
        .size:           4
        .value_kind:     hidden_block_count_y
      - .offset:         144
        .size:           4
        .value_kind:     hidden_block_count_z
      - .offset:         148
        .size:           2
        .value_kind:     hidden_group_size_x
      - .offset:         150
        .size:           2
        .value_kind:     hidden_group_size_y
      - .offset:         152
        .size:           2
        .value_kind:     hidden_group_size_z
      - .offset:         154
        .size:           2
        .value_kind:     hidden_remainder_x
      - .offset:         156
        .size:           2
        .value_kind:     hidden_remainder_y
      - .offset:         158
        .size:           2
        .value_kind:     hidden_remainder_z
      - .offset:         176
        .size:           8
        .value_kind:     hidden_global_offset_x
      - .offset:         184
        .size:           8
        .value_kind:     hidden_global_offset_y
      - .offset:         192
        .size:           8
        .value_kind:     hidden_global_offset_z
      - .offset:         200
        .size:           2
        .value_kind:     hidden_grid_dims
    .group_segment_fixed_size: 640
    .kernarg_segment_align: 8
    .kernarg_segment_size: 392
    .language:       OpenCL C
    .language_version:
      - 2
      - 0
    .max_flat_workgroup_size: 64
    .name:           _ZN9rocsparseL29bsrmmnt_small_blockdim_kernelILj64ELj16ELj2EiiDF16_DF16_ffEEv20rocsparse_direction_T3_S2_llNS_24const_host_device_scalarIT7_EEPKT2_PKS2_PKT4_PKT5_llS5_PT6_ll16rocsparse_order_21rocsparse_index_base_b
    .private_segment_fixed_size: 0
    .sgpr_count:     36
    .sgpr_spill_count: 0
    .symbol:         _ZN9rocsparseL29bsrmmnt_small_blockdim_kernelILj64ELj16ELj2EiiDF16_DF16_ffEEv20rocsparse_direction_T3_S2_llNS_24const_host_device_scalarIT7_EEPKT2_PKS2_PKT4_PKT5_llS5_PT6_ll16rocsparse_order_21rocsparse_index_base_b.kd
    .uniform_work_group_size: 1
    .uses_dynamic_stack: false
    .vgpr_count:     37
    .vgpr_spill_count: 0
    .wavefront_size: 64
  - .agpr_count:     0
    .args:
      - .offset:         0
        .size:           4
        .value_kind:     by_value
      - .offset:         4
        .size:           4
        .value_kind:     by_value
      - .offset:         8
        .size:           4
        .value_kind:     by_value
      - .offset:         16
        .size:           8
        .value_kind:     by_value
      - .offset:         24
        .size:           8
        .value_kind:     by_value
      - .offset:         32
        .size:           8
        .value_kind:     by_value
      - .actual_access:  read_only
        .address_space:  global
        .offset:         40
        .size:           8
        .value_kind:     global_buffer
      - .actual_access:  read_only
        .address_space:  global
        .offset:         48
        .size:           8
        .value_kind:     global_buffer
      - .actual_access:  read_only
        .address_space:  global
        .offset:         56
        .size:           8
        .value_kind:     global_buffer
      - .actual_access:  read_only
        .address_space:  global
        .offset:         64
        .size:           8
        .value_kind:     global_buffer
      - .offset:         72
        .size:           8
        .value_kind:     by_value
      - .offset:         80
        .size:           8
        .value_kind:     by_value
      - .offset:         88
        .size:           8
        .value_kind:     by_value
      - .address_space:  global
        .offset:         96
        .size:           8
        .value_kind:     global_buffer
      - .offset:         104
        .size:           8
        .value_kind:     by_value
      - .offset:         112
        .size:           8
        .value_kind:     by_value
      - .offset:         120
        .size:           4
        .value_kind:     by_value
      - .offset:         124
        .size:           4
        .value_kind:     by_value
      - .offset:         128
        .size:           1
        .value_kind:     by_value
      - .offset:         136
        .size:           4
        .value_kind:     hidden_block_count_x
      - .offset:         140
        .size:           4
        .value_kind:     hidden_block_count_y
      - .offset:         144
        .size:           4
        .value_kind:     hidden_block_count_z
      - .offset:         148
        .size:           2
        .value_kind:     hidden_group_size_x
      - .offset:         150
        .size:           2
        .value_kind:     hidden_group_size_y
      - .offset:         152
        .size:           2
        .value_kind:     hidden_group_size_z
      - .offset:         154
        .size:           2
        .value_kind:     hidden_remainder_x
      - .offset:         156
        .size:           2
        .value_kind:     hidden_remainder_y
      - .offset:         158
        .size:           2
        .value_kind:     hidden_remainder_z
      - .offset:         176
        .size:           8
        .value_kind:     hidden_global_offset_x
      - .offset:         184
        .size:           8
        .value_kind:     hidden_global_offset_y
      - .offset:         192
        .size:           8
        .value_kind:     hidden_global_offset_z
      - .offset:         200
        .size:           2
        .value_kind:     hidden_grid_dims
    .group_segment_fixed_size: 640
    .kernarg_segment_align: 8
    .kernarg_segment_size: 392
    .language:       OpenCL C
    .language_version:
      - 2
      - 0
    .max_flat_workgroup_size: 64
    .name:           _ZN9rocsparseL29bsrmmnt_small_blockdim_kernelILj64ELj32ELj2EiiDF16_DF16_ffEEv20rocsparse_direction_T3_S2_llNS_24const_host_device_scalarIT7_EEPKT2_PKS2_PKT4_PKT5_llS5_PT6_ll16rocsparse_order_21rocsparse_index_base_b
    .private_segment_fixed_size: 0
    .sgpr_count:     36
    .sgpr_spill_count: 0
    .symbol:         _ZN9rocsparseL29bsrmmnt_small_blockdim_kernelILj64ELj32ELj2EiiDF16_DF16_ffEEv20rocsparse_direction_T3_S2_llNS_24const_host_device_scalarIT7_EEPKT2_PKS2_PKT4_PKT5_llS5_PT6_ll16rocsparse_order_21rocsparse_index_base_b.kd
    .uniform_work_group_size: 1
    .uses_dynamic_stack: false
    .vgpr_count:     37
    .vgpr_spill_count: 0
    .wavefront_size: 64
  - .agpr_count:     0
    .args:
      - .offset:         0
        .size:           4
        .value_kind:     by_value
      - .offset:         4
        .size:           4
        .value_kind:     by_value
      - .offset:         8
        .size:           4
        .value_kind:     by_value
      - .offset:         16
        .size:           8
        .value_kind:     by_value
      - .offset:         24
        .size:           8
        .value_kind:     by_value
      - .offset:         32
        .size:           8
        .value_kind:     by_value
      - .actual_access:  read_only
        .address_space:  global
        .offset:         40
        .size:           8
        .value_kind:     global_buffer
      - .actual_access:  read_only
        .address_space:  global
        .offset:         48
        .size:           8
        .value_kind:     global_buffer
      - .actual_access:  read_only
        .address_space:  global
        .offset:         56
        .size:           8
        .value_kind:     global_buffer
      - .actual_access:  read_only
        .address_space:  global
        .offset:         64
        .size:           8
        .value_kind:     global_buffer
      - .offset:         72
        .size:           8
        .value_kind:     by_value
      - .offset:         80
        .size:           8
        .value_kind:     by_value
      - .offset:         88
        .size:           8
        .value_kind:     by_value
      - .address_space:  global
        .offset:         96
        .size:           8
        .value_kind:     global_buffer
      - .offset:         104
        .size:           8
        .value_kind:     by_value
      - .offset:         112
        .size:           8
        .value_kind:     by_value
      - .offset:         120
        .size:           4
        .value_kind:     by_value
      - .offset:         124
        .size:           4
        .value_kind:     by_value
      - .offset:         128
        .size:           1
        .value_kind:     by_value
      - .offset:         136
        .size:           4
        .value_kind:     hidden_block_count_x
      - .offset:         140
        .size:           4
        .value_kind:     hidden_block_count_y
      - .offset:         144
        .size:           4
        .value_kind:     hidden_block_count_z
      - .offset:         148
        .size:           2
        .value_kind:     hidden_group_size_x
      - .offset:         150
        .size:           2
        .value_kind:     hidden_group_size_y
      - .offset:         152
        .size:           2
        .value_kind:     hidden_group_size_z
      - .offset:         154
        .size:           2
        .value_kind:     hidden_remainder_x
      - .offset:         156
        .size:           2
        .value_kind:     hidden_remainder_y
      - .offset:         158
        .size:           2
        .value_kind:     hidden_remainder_z
      - .offset:         176
        .size:           8
        .value_kind:     hidden_global_offset_x
      - .offset:         184
        .size:           8
        .value_kind:     hidden_global_offset_y
      - .offset:         192
        .size:           8
        .value_kind:     hidden_global_offset_z
      - .offset:         200
        .size:           2
        .value_kind:     hidden_grid_dims
    .group_segment_fixed_size: 640
    .kernarg_segment_align: 8
    .kernarg_segment_size: 392
    .language:       OpenCL C
    .language_version:
      - 2
      - 0
    .max_flat_workgroup_size: 64
    .name:           _ZN9rocsparseL29bsrmmnt_small_blockdim_kernelILj64ELj64ELj2EiiDF16_DF16_ffEEv20rocsparse_direction_T3_S2_llNS_24const_host_device_scalarIT7_EEPKT2_PKS2_PKT4_PKT5_llS5_PT6_ll16rocsparse_order_21rocsparse_index_base_b
    .private_segment_fixed_size: 0
    .sgpr_count:     36
    .sgpr_spill_count: 0
    .symbol:         _ZN9rocsparseL29bsrmmnt_small_blockdim_kernelILj64ELj64ELj2EiiDF16_DF16_ffEEv20rocsparse_direction_T3_S2_llNS_24const_host_device_scalarIT7_EEPKT2_PKS2_PKT4_PKT5_llS5_PT6_ll16rocsparse_order_21rocsparse_index_base_b.kd
    .uniform_work_group_size: 1
    .uses_dynamic_stack: false
    .vgpr_count:     35
    .vgpr_spill_count: 0
    .wavefront_size: 64
  - .agpr_count:     0
    .args:
      - .offset:         0
        .size:           4
        .value_kind:     by_value
      - .offset:         4
        .size:           4
        .value_kind:     by_value
      - .offset:         8
        .size:           4
        .value_kind:     by_value
      - .offset:         16
        .size:           8
        .value_kind:     by_value
      - .offset:         24
        .size:           8
        .value_kind:     by_value
      - .offset:         32
        .size:           8
        .value_kind:     by_value
      - .actual_access:  read_only
        .address_space:  global
        .offset:         40
        .size:           8
        .value_kind:     global_buffer
      - .actual_access:  read_only
        .address_space:  global
        .offset:         48
        .size:           8
        .value_kind:     global_buffer
      - .actual_access:  read_only
        .address_space:  global
        .offset:         56
        .size:           8
        .value_kind:     global_buffer
      - .actual_access:  read_only
        .address_space:  global
        .offset:         64
        .size:           8
        .value_kind:     global_buffer
      - .offset:         72
        .size:           8
        .value_kind:     by_value
      - .offset:         80
        .size:           8
        .value_kind:     by_value
      - .offset:         88
        .size:           8
        .value_kind:     by_value
      - .address_space:  global
        .offset:         96
        .size:           8
        .value_kind:     global_buffer
      - .offset:         104
        .size:           8
        .value_kind:     by_value
      - .offset:         112
        .size:           8
        .value_kind:     by_value
      - .offset:         120
        .size:           4
        .value_kind:     by_value
      - .offset:         124
        .size:           4
        .value_kind:     by_value
      - .offset:         128
        .size:           1
        .value_kind:     by_value
      - .offset:         136
        .size:           4
        .value_kind:     hidden_block_count_x
      - .offset:         140
        .size:           4
        .value_kind:     hidden_block_count_y
      - .offset:         144
        .size:           4
        .value_kind:     hidden_block_count_z
      - .offset:         148
        .size:           2
        .value_kind:     hidden_group_size_x
      - .offset:         150
        .size:           2
        .value_kind:     hidden_group_size_y
      - .offset:         152
        .size:           2
        .value_kind:     hidden_group_size_z
      - .offset:         154
        .size:           2
        .value_kind:     hidden_remainder_x
      - .offset:         156
        .size:           2
        .value_kind:     hidden_remainder_y
      - .offset:         158
        .size:           2
        .value_kind:     hidden_remainder_z
      - .offset:         176
        .size:           8
        .value_kind:     hidden_global_offset_x
      - .offset:         184
        .size:           8
        .value_kind:     hidden_global_offset_y
      - .offset:         192
        .size:           8
        .value_kind:     hidden_global_offset_z
      - .offset:         200
        .size:           2
        .value_kind:     hidden_grid_dims
    .group_segment_fixed_size: 640
    .kernarg_segment_align: 8
    .kernarg_segment_size: 392
    .language:       OpenCL C
    .language_version:
      - 2
      - 0
    .max_flat_workgroup_size: 64
    .name:           _ZN9rocsparseL29bsrmmnt_small_blockdim_kernelILj64ELj8ELj2EliDF16_DF16_ffEEv20rocsparse_direction_T3_S2_llNS_24const_host_device_scalarIT7_EEPKT2_PKS2_PKT4_PKT5_llS5_PT6_ll16rocsparse_order_21rocsparse_index_base_b
    .private_segment_fixed_size: 0
    .sgpr_count:     36
    .sgpr_spill_count: 0
    .symbol:         _ZN9rocsparseL29bsrmmnt_small_blockdim_kernelILj64ELj8ELj2EliDF16_DF16_ffEEv20rocsparse_direction_T3_S2_llNS_24const_host_device_scalarIT7_EEPKT2_PKS2_PKT4_PKT5_llS5_PT6_ll16rocsparse_order_21rocsparse_index_base_b.kd
    .uniform_work_group_size: 1
    .uses_dynamic_stack: false
    .vgpr_count:     38
    .vgpr_spill_count: 0
    .wavefront_size: 64
  - .agpr_count:     0
    .args:
      - .offset:         0
        .size:           4
        .value_kind:     by_value
      - .offset:         4
        .size:           4
        .value_kind:     by_value
      - .offset:         8
        .size:           4
        .value_kind:     by_value
      - .offset:         16
        .size:           8
        .value_kind:     by_value
      - .offset:         24
        .size:           8
        .value_kind:     by_value
      - .offset:         32
        .size:           8
        .value_kind:     by_value
      - .actual_access:  read_only
        .address_space:  global
        .offset:         40
        .size:           8
        .value_kind:     global_buffer
      - .actual_access:  read_only
        .address_space:  global
        .offset:         48
        .size:           8
        .value_kind:     global_buffer
      - .actual_access:  read_only
        .address_space:  global
        .offset:         56
        .size:           8
        .value_kind:     global_buffer
      - .actual_access:  read_only
        .address_space:  global
        .offset:         64
        .size:           8
        .value_kind:     global_buffer
      - .offset:         72
        .size:           8
        .value_kind:     by_value
      - .offset:         80
        .size:           8
        .value_kind:     by_value
      - .offset:         88
        .size:           8
        .value_kind:     by_value
      - .address_space:  global
        .offset:         96
        .size:           8
        .value_kind:     global_buffer
      - .offset:         104
        .size:           8
        .value_kind:     by_value
      - .offset:         112
        .size:           8
        .value_kind:     by_value
      - .offset:         120
        .size:           4
        .value_kind:     by_value
      - .offset:         124
        .size:           4
        .value_kind:     by_value
      - .offset:         128
        .size:           1
        .value_kind:     by_value
      - .offset:         136
        .size:           4
        .value_kind:     hidden_block_count_x
      - .offset:         140
        .size:           4
        .value_kind:     hidden_block_count_y
      - .offset:         144
        .size:           4
        .value_kind:     hidden_block_count_z
      - .offset:         148
        .size:           2
        .value_kind:     hidden_group_size_x
      - .offset:         150
        .size:           2
        .value_kind:     hidden_group_size_y
      - .offset:         152
        .size:           2
        .value_kind:     hidden_group_size_z
      - .offset:         154
        .size:           2
        .value_kind:     hidden_remainder_x
      - .offset:         156
        .size:           2
        .value_kind:     hidden_remainder_y
      - .offset:         158
        .size:           2
        .value_kind:     hidden_remainder_z
      - .offset:         176
        .size:           8
        .value_kind:     hidden_global_offset_x
      - .offset:         184
        .size:           8
        .value_kind:     hidden_global_offset_y
      - .offset:         192
        .size:           8
        .value_kind:     hidden_global_offset_z
      - .offset:         200
        .size:           2
        .value_kind:     hidden_grid_dims
    .group_segment_fixed_size: 640
    .kernarg_segment_align: 8
    .kernarg_segment_size: 392
    .language:       OpenCL C
    .language_version:
      - 2
      - 0
    .max_flat_workgroup_size: 64
    .name:           _ZN9rocsparseL29bsrmmnt_small_blockdim_kernelILj64ELj16ELj2EliDF16_DF16_ffEEv20rocsparse_direction_T3_S2_llNS_24const_host_device_scalarIT7_EEPKT2_PKS2_PKT4_PKT5_llS5_PT6_ll16rocsparse_order_21rocsparse_index_base_b
    .private_segment_fixed_size: 0
    .sgpr_count:     36
    .sgpr_spill_count: 0
    .symbol:         _ZN9rocsparseL29bsrmmnt_small_blockdim_kernelILj64ELj16ELj2EliDF16_DF16_ffEEv20rocsparse_direction_T3_S2_llNS_24const_host_device_scalarIT7_EEPKT2_PKS2_PKT4_PKT5_llS5_PT6_ll16rocsparse_order_21rocsparse_index_base_b.kd
    .uniform_work_group_size: 1
    .uses_dynamic_stack: false
    .vgpr_count:     38
    .vgpr_spill_count: 0
    .wavefront_size: 64
  - .agpr_count:     0
    .args:
      - .offset:         0
        .size:           4
        .value_kind:     by_value
      - .offset:         4
        .size:           4
        .value_kind:     by_value
      - .offset:         8
        .size:           4
        .value_kind:     by_value
      - .offset:         16
        .size:           8
        .value_kind:     by_value
      - .offset:         24
        .size:           8
        .value_kind:     by_value
      - .offset:         32
        .size:           8
        .value_kind:     by_value
      - .actual_access:  read_only
        .address_space:  global
        .offset:         40
        .size:           8
        .value_kind:     global_buffer
      - .actual_access:  read_only
        .address_space:  global
        .offset:         48
        .size:           8
        .value_kind:     global_buffer
      - .actual_access:  read_only
        .address_space:  global
        .offset:         56
        .size:           8
        .value_kind:     global_buffer
      - .actual_access:  read_only
        .address_space:  global
        .offset:         64
        .size:           8
        .value_kind:     global_buffer
      - .offset:         72
        .size:           8
        .value_kind:     by_value
      - .offset:         80
        .size:           8
        .value_kind:     by_value
      - .offset:         88
        .size:           8
        .value_kind:     by_value
      - .address_space:  global
        .offset:         96
        .size:           8
        .value_kind:     global_buffer
      - .offset:         104
        .size:           8
        .value_kind:     by_value
      - .offset:         112
        .size:           8
        .value_kind:     by_value
      - .offset:         120
        .size:           4
        .value_kind:     by_value
      - .offset:         124
        .size:           4
        .value_kind:     by_value
      - .offset:         128
        .size:           1
        .value_kind:     by_value
      - .offset:         136
        .size:           4
        .value_kind:     hidden_block_count_x
      - .offset:         140
        .size:           4
        .value_kind:     hidden_block_count_y
      - .offset:         144
        .size:           4
        .value_kind:     hidden_block_count_z
      - .offset:         148
        .size:           2
        .value_kind:     hidden_group_size_x
      - .offset:         150
        .size:           2
        .value_kind:     hidden_group_size_y
      - .offset:         152
        .size:           2
        .value_kind:     hidden_group_size_z
      - .offset:         154
        .size:           2
        .value_kind:     hidden_remainder_x
      - .offset:         156
        .size:           2
        .value_kind:     hidden_remainder_y
      - .offset:         158
        .size:           2
        .value_kind:     hidden_remainder_z
      - .offset:         176
        .size:           8
        .value_kind:     hidden_global_offset_x
      - .offset:         184
        .size:           8
        .value_kind:     hidden_global_offset_y
      - .offset:         192
        .size:           8
        .value_kind:     hidden_global_offset_z
      - .offset:         200
        .size:           2
        .value_kind:     hidden_grid_dims
    .group_segment_fixed_size: 640
    .kernarg_segment_align: 8
    .kernarg_segment_size: 392
    .language:       OpenCL C
    .language_version:
      - 2
      - 0
    .max_flat_workgroup_size: 64
    .name:           _ZN9rocsparseL29bsrmmnt_small_blockdim_kernelILj64ELj32ELj2EliDF16_DF16_ffEEv20rocsparse_direction_T3_S2_llNS_24const_host_device_scalarIT7_EEPKT2_PKS2_PKT4_PKT5_llS5_PT6_ll16rocsparse_order_21rocsparse_index_base_b
    .private_segment_fixed_size: 0
    .sgpr_count:     36
    .sgpr_spill_count: 0
    .symbol:         _ZN9rocsparseL29bsrmmnt_small_blockdim_kernelILj64ELj32ELj2EliDF16_DF16_ffEEv20rocsparse_direction_T3_S2_llNS_24const_host_device_scalarIT7_EEPKT2_PKS2_PKT4_PKT5_llS5_PT6_ll16rocsparse_order_21rocsparse_index_base_b.kd
    .uniform_work_group_size: 1
    .uses_dynamic_stack: false
    .vgpr_count:     38
    .vgpr_spill_count: 0
    .wavefront_size: 64
  - .agpr_count:     0
    .args:
      - .offset:         0
        .size:           4
        .value_kind:     by_value
      - .offset:         4
        .size:           4
        .value_kind:     by_value
      - .offset:         8
        .size:           4
        .value_kind:     by_value
      - .offset:         16
        .size:           8
        .value_kind:     by_value
      - .offset:         24
        .size:           8
        .value_kind:     by_value
      - .offset:         32
        .size:           8
        .value_kind:     by_value
      - .actual_access:  read_only
        .address_space:  global
        .offset:         40
        .size:           8
        .value_kind:     global_buffer
      - .actual_access:  read_only
        .address_space:  global
        .offset:         48
        .size:           8
        .value_kind:     global_buffer
      - .actual_access:  read_only
        .address_space:  global
        .offset:         56
        .size:           8
        .value_kind:     global_buffer
      - .actual_access:  read_only
        .address_space:  global
        .offset:         64
        .size:           8
        .value_kind:     global_buffer
      - .offset:         72
        .size:           8
        .value_kind:     by_value
      - .offset:         80
        .size:           8
        .value_kind:     by_value
      - .offset:         88
        .size:           8
        .value_kind:     by_value
      - .address_space:  global
        .offset:         96
        .size:           8
        .value_kind:     global_buffer
      - .offset:         104
        .size:           8
        .value_kind:     by_value
      - .offset:         112
        .size:           8
        .value_kind:     by_value
      - .offset:         120
        .size:           4
        .value_kind:     by_value
      - .offset:         124
        .size:           4
        .value_kind:     by_value
      - .offset:         128
        .size:           1
        .value_kind:     by_value
      - .offset:         136
        .size:           4
        .value_kind:     hidden_block_count_x
      - .offset:         140
        .size:           4
        .value_kind:     hidden_block_count_y
      - .offset:         144
        .size:           4
        .value_kind:     hidden_block_count_z
      - .offset:         148
        .size:           2
        .value_kind:     hidden_group_size_x
      - .offset:         150
        .size:           2
        .value_kind:     hidden_group_size_y
      - .offset:         152
        .size:           2
        .value_kind:     hidden_group_size_z
      - .offset:         154
        .size:           2
        .value_kind:     hidden_remainder_x
      - .offset:         156
        .size:           2
        .value_kind:     hidden_remainder_y
      - .offset:         158
        .size:           2
        .value_kind:     hidden_remainder_z
      - .offset:         176
        .size:           8
        .value_kind:     hidden_global_offset_x
      - .offset:         184
        .size:           8
        .value_kind:     hidden_global_offset_y
      - .offset:         192
        .size:           8
        .value_kind:     hidden_global_offset_z
      - .offset:         200
        .size:           2
        .value_kind:     hidden_grid_dims
    .group_segment_fixed_size: 640
    .kernarg_segment_align: 8
    .kernarg_segment_size: 392
    .language:       OpenCL C
    .language_version:
      - 2
      - 0
    .max_flat_workgroup_size: 64
    .name:           _ZN9rocsparseL29bsrmmnt_small_blockdim_kernelILj64ELj64ELj2EliDF16_DF16_ffEEv20rocsparse_direction_T3_S2_llNS_24const_host_device_scalarIT7_EEPKT2_PKS2_PKT4_PKT5_llS5_PT6_ll16rocsparse_order_21rocsparse_index_base_b
    .private_segment_fixed_size: 0
    .sgpr_count:     36
    .sgpr_spill_count: 0
    .symbol:         _ZN9rocsparseL29bsrmmnt_small_blockdim_kernelILj64ELj64ELj2EliDF16_DF16_ffEEv20rocsparse_direction_T3_S2_llNS_24const_host_device_scalarIT7_EEPKT2_PKS2_PKT4_PKT5_llS5_PT6_ll16rocsparse_order_21rocsparse_index_base_b.kd
    .uniform_work_group_size: 1
    .uses_dynamic_stack: false
    .vgpr_count:     37
    .vgpr_spill_count: 0
    .wavefront_size: 64
  - .agpr_count:     0
    .args:
      - .offset:         0
        .size:           4
        .value_kind:     by_value
      - .offset:         8
        .size:           8
        .value_kind:     by_value
      - .offset:         16
        .size:           8
        .value_kind:     by_value
      - .offset:         24
        .size:           8
        .value_kind:     by_value
      - .offset:         32
        .size:           8
        .value_kind:     by_value
      - .offset:         40
        .size:           8
        .value_kind:     by_value
      - .actual_access:  read_only
        .address_space:  global
        .offset:         48
        .size:           8
        .value_kind:     global_buffer
      - .actual_access:  read_only
        .address_space:  global
        .offset:         56
        .size:           8
        .value_kind:     global_buffer
      - .actual_access:  read_only
        .address_space:  global
        .offset:         64
        .size:           8
        .value_kind:     global_buffer
      - .actual_access:  read_only
        .address_space:  global
        .offset:         72
        .size:           8
        .value_kind:     global_buffer
      - .offset:         80
        .size:           8
        .value_kind:     by_value
      - .offset:         88
        .size:           8
        .value_kind:     by_value
      - .offset:         96
        .size:           8
        .value_kind:     by_value
      - .address_space:  global
        .offset:         104
        .size:           8
        .value_kind:     global_buffer
      - .offset:         112
        .size:           8
        .value_kind:     by_value
      - .offset:         120
        .size:           8
        .value_kind:     by_value
      - .offset:         128
        .size:           4
        .value_kind:     by_value
      - .offset:         132
        .size:           4
        .value_kind:     by_value
      - .offset:         136
        .size:           1
        .value_kind:     by_value
      - .offset:         144
        .size:           4
        .value_kind:     hidden_block_count_x
      - .offset:         148
        .size:           4
        .value_kind:     hidden_block_count_y
      - .offset:         152
        .size:           4
        .value_kind:     hidden_block_count_z
      - .offset:         156
        .size:           2
        .value_kind:     hidden_group_size_x
      - .offset:         158
        .size:           2
        .value_kind:     hidden_group_size_y
      - .offset:         160
        .size:           2
        .value_kind:     hidden_group_size_z
      - .offset:         162
        .size:           2
        .value_kind:     hidden_remainder_x
      - .offset:         164
        .size:           2
        .value_kind:     hidden_remainder_y
      - .offset:         166
        .size:           2
        .value_kind:     hidden_remainder_z
      - .offset:         184
        .size:           8
        .value_kind:     hidden_global_offset_x
      - .offset:         192
        .size:           8
        .value_kind:     hidden_global_offset_y
      - .offset:         200
        .size:           8
        .value_kind:     hidden_global_offset_z
      - .offset:         208
        .size:           2
        .value_kind:     hidden_grid_dims
    .group_segment_fixed_size: 896
    .kernarg_segment_align: 8
    .kernarg_segment_size: 400
    .language:       OpenCL C
    .language_version:
      - 2
      - 0
    .max_flat_workgroup_size: 64
    .name:           _ZN9rocsparseL29bsrmmnt_small_blockdim_kernelILj64ELj8ELj2EllDF16_DF16_ffEEv20rocsparse_direction_T3_S2_llNS_24const_host_device_scalarIT7_EEPKT2_PKS2_PKT4_PKT5_llS5_PT6_ll16rocsparse_order_21rocsparse_index_base_b
    .private_segment_fixed_size: 0
    .sgpr_count:     42
    .sgpr_spill_count: 0
    .symbol:         _ZN9rocsparseL29bsrmmnt_small_blockdim_kernelILj64ELj8ELj2EllDF16_DF16_ffEEv20rocsparse_direction_T3_S2_llNS_24const_host_device_scalarIT7_EEPKT2_PKS2_PKT4_PKT5_llS5_PT6_ll16rocsparse_order_21rocsparse_index_base_b.kd
    .uniform_work_group_size: 1
    .uses_dynamic_stack: false
    .vgpr_count:     35
    .vgpr_spill_count: 0
    .wavefront_size: 64
  - .agpr_count:     0
    .args:
      - .offset:         0
        .size:           4
        .value_kind:     by_value
      - .offset:         8
        .size:           8
        .value_kind:     by_value
      - .offset:         16
        .size:           8
        .value_kind:     by_value
      - .offset:         24
        .size:           8
        .value_kind:     by_value
      - .offset:         32
        .size:           8
        .value_kind:     by_value
      - .offset:         40
        .size:           8
        .value_kind:     by_value
      - .actual_access:  read_only
        .address_space:  global
        .offset:         48
        .size:           8
        .value_kind:     global_buffer
      - .actual_access:  read_only
        .address_space:  global
        .offset:         56
        .size:           8
        .value_kind:     global_buffer
      - .actual_access:  read_only
        .address_space:  global
        .offset:         64
        .size:           8
        .value_kind:     global_buffer
      - .actual_access:  read_only
        .address_space:  global
        .offset:         72
        .size:           8
        .value_kind:     global_buffer
      - .offset:         80
        .size:           8
        .value_kind:     by_value
      - .offset:         88
        .size:           8
        .value_kind:     by_value
      - .offset:         96
        .size:           8
        .value_kind:     by_value
      - .address_space:  global
        .offset:         104
        .size:           8
        .value_kind:     global_buffer
      - .offset:         112
        .size:           8
        .value_kind:     by_value
      - .offset:         120
        .size:           8
        .value_kind:     by_value
      - .offset:         128
        .size:           4
        .value_kind:     by_value
      - .offset:         132
        .size:           4
        .value_kind:     by_value
      - .offset:         136
        .size:           1
        .value_kind:     by_value
      - .offset:         144
        .size:           4
        .value_kind:     hidden_block_count_x
      - .offset:         148
        .size:           4
        .value_kind:     hidden_block_count_y
      - .offset:         152
        .size:           4
        .value_kind:     hidden_block_count_z
      - .offset:         156
        .size:           2
        .value_kind:     hidden_group_size_x
      - .offset:         158
        .size:           2
        .value_kind:     hidden_group_size_y
      - .offset:         160
        .size:           2
        .value_kind:     hidden_group_size_z
      - .offset:         162
        .size:           2
        .value_kind:     hidden_remainder_x
      - .offset:         164
        .size:           2
        .value_kind:     hidden_remainder_y
      - .offset:         166
        .size:           2
        .value_kind:     hidden_remainder_z
      - .offset:         184
        .size:           8
        .value_kind:     hidden_global_offset_x
      - .offset:         192
        .size:           8
        .value_kind:     hidden_global_offset_y
      - .offset:         200
        .size:           8
        .value_kind:     hidden_global_offset_z
      - .offset:         208
        .size:           2
        .value_kind:     hidden_grid_dims
    .group_segment_fixed_size: 896
    .kernarg_segment_align: 8
    .kernarg_segment_size: 400
    .language:       OpenCL C
    .language_version:
      - 2
      - 0
    .max_flat_workgroup_size: 64
    .name:           _ZN9rocsparseL29bsrmmnt_small_blockdim_kernelILj64ELj16ELj2EllDF16_DF16_ffEEv20rocsparse_direction_T3_S2_llNS_24const_host_device_scalarIT7_EEPKT2_PKS2_PKT4_PKT5_llS5_PT6_ll16rocsparse_order_21rocsparse_index_base_b
    .private_segment_fixed_size: 0
    .sgpr_count:     42
    .sgpr_spill_count: 0
    .symbol:         _ZN9rocsparseL29bsrmmnt_small_blockdim_kernelILj64ELj16ELj2EllDF16_DF16_ffEEv20rocsparse_direction_T3_S2_llNS_24const_host_device_scalarIT7_EEPKT2_PKS2_PKT4_PKT5_llS5_PT6_ll16rocsparse_order_21rocsparse_index_base_b.kd
    .uniform_work_group_size: 1
    .uses_dynamic_stack: false
    .vgpr_count:     35
    .vgpr_spill_count: 0
    .wavefront_size: 64
  - .agpr_count:     0
    .args:
      - .offset:         0
        .size:           4
        .value_kind:     by_value
      - .offset:         8
        .size:           8
        .value_kind:     by_value
      - .offset:         16
        .size:           8
        .value_kind:     by_value
      - .offset:         24
        .size:           8
        .value_kind:     by_value
      - .offset:         32
        .size:           8
        .value_kind:     by_value
      - .offset:         40
        .size:           8
        .value_kind:     by_value
      - .actual_access:  read_only
        .address_space:  global
        .offset:         48
        .size:           8
        .value_kind:     global_buffer
      - .actual_access:  read_only
        .address_space:  global
        .offset:         56
        .size:           8
        .value_kind:     global_buffer
      - .actual_access:  read_only
        .address_space:  global
        .offset:         64
        .size:           8
        .value_kind:     global_buffer
      - .actual_access:  read_only
        .address_space:  global
        .offset:         72
        .size:           8
        .value_kind:     global_buffer
      - .offset:         80
        .size:           8
        .value_kind:     by_value
      - .offset:         88
        .size:           8
        .value_kind:     by_value
      - .offset:         96
        .size:           8
        .value_kind:     by_value
      - .address_space:  global
        .offset:         104
        .size:           8
        .value_kind:     global_buffer
      - .offset:         112
        .size:           8
        .value_kind:     by_value
      - .offset:         120
        .size:           8
        .value_kind:     by_value
      - .offset:         128
        .size:           4
        .value_kind:     by_value
      - .offset:         132
        .size:           4
        .value_kind:     by_value
      - .offset:         136
        .size:           1
        .value_kind:     by_value
      - .offset:         144
        .size:           4
        .value_kind:     hidden_block_count_x
      - .offset:         148
        .size:           4
        .value_kind:     hidden_block_count_y
      - .offset:         152
        .size:           4
        .value_kind:     hidden_block_count_z
      - .offset:         156
        .size:           2
        .value_kind:     hidden_group_size_x
      - .offset:         158
        .size:           2
        .value_kind:     hidden_group_size_y
      - .offset:         160
        .size:           2
        .value_kind:     hidden_group_size_z
      - .offset:         162
        .size:           2
        .value_kind:     hidden_remainder_x
      - .offset:         164
        .size:           2
        .value_kind:     hidden_remainder_y
      - .offset:         166
        .size:           2
        .value_kind:     hidden_remainder_z
      - .offset:         184
        .size:           8
        .value_kind:     hidden_global_offset_x
      - .offset:         192
        .size:           8
        .value_kind:     hidden_global_offset_y
      - .offset:         200
        .size:           8
        .value_kind:     hidden_global_offset_z
      - .offset:         208
        .size:           2
        .value_kind:     hidden_grid_dims
    .group_segment_fixed_size: 896
    .kernarg_segment_align: 8
    .kernarg_segment_size: 400
    .language:       OpenCL C
    .language_version:
      - 2
      - 0
    .max_flat_workgroup_size: 64
    .name:           _ZN9rocsparseL29bsrmmnt_small_blockdim_kernelILj64ELj32ELj2EllDF16_DF16_ffEEv20rocsparse_direction_T3_S2_llNS_24const_host_device_scalarIT7_EEPKT2_PKS2_PKT4_PKT5_llS5_PT6_ll16rocsparse_order_21rocsparse_index_base_b
    .private_segment_fixed_size: 0
    .sgpr_count:     42
    .sgpr_spill_count: 0
    .symbol:         _ZN9rocsparseL29bsrmmnt_small_blockdim_kernelILj64ELj32ELj2EllDF16_DF16_ffEEv20rocsparse_direction_T3_S2_llNS_24const_host_device_scalarIT7_EEPKT2_PKS2_PKT4_PKT5_llS5_PT6_ll16rocsparse_order_21rocsparse_index_base_b.kd
    .uniform_work_group_size: 1
    .uses_dynamic_stack: false
    .vgpr_count:     35
    .vgpr_spill_count: 0
    .wavefront_size: 64
  - .agpr_count:     0
    .args:
      - .offset:         0
        .size:           4
        .value_kind:     by_value
      - .offset:         8
        .size:           8
        .value_kind:     by_value
      - .offset:         16
        .size:           8
        .value_kind:     by_value
      - .offset:         24
        .size:           8
        .value_kind:     by_value
      - .offset:         32
        .size:           8
        .value_kind:     by_value
      - .offset:         40
        .size:           8
        .value_kind:     by_value
      - .actual_access:  read_only
        .address_space:  global
        .offset:         48
        .size:           8
        .value_kind:     global_buffer
      - .actual_access:  read_only
        .address_space:  global
        .offset:         56
        .size:           8
        .value_kind:     global_buffer
      - .actual_access:  read_only
        .address_space:  global
        .offset:         64
        .size:           8
        .value_kind:     global_buffer
      - .actual_access:  read_only
        .address_space:  global
        .offset:         72
        .size:           8
        .value_kind:     global_buffer
      - .offset:         80
        .size:           8
        .value_kind:     by_value
      - .offset:         88
        .size:           8
        .value_kind:     by_value
      - .offset:         96
        .size:           8
        .value_kind:     by_value
      - .address_space:  global
        .offset:         104
        .size:           8
        .value_kind:     global_buffer
      - .offset:         112
        .size:           8
        .value_kind:     by_value
      - .offset:         120
        .size:           8
        .value_kind:     by_value
      - .offset:         128
        .size:           4
        .value_kind:     by_value
      - .offset:         132
        .size:           4
        .value_kind:     by_value
      - .offset:         136
        .size:           1
        .value_kind:     by_value
      - .offset:         144
        .size:           4
        .value_kind:     hidden_block_count_x
      - .offset:         148
        .size:           4
        .value_kind:     hidden_block_count_y
      - .offset:         152
        .size:           4
        .value_kind:     hidden_block_count_z
      - .offset:         156
        .size:           2
        .value_kind:     hidden_group_size_x
      - .offset:         158
        .size:           2
        .value_kind:     hidden_group_size_y
      - .offset:         160
        .size:           2
        .value_kind:     hidden_group_size_z
      - .offset:         162
        .size:           2
        .value_kind:     hidden_remainder_x
      - .offset:         164
        .size:           2
        .value_kind:     hidden_remainder_y
      - .offset:         166
        .size:           2
        .value_kind:     hidden_remainder_z
      - .offset:         184
        .size:           8
        .value_kind:     hidden_global_offset_x
      - .offset:         192
        .size:           8
        .value_kind:     hidden_global_offset_y
      - .offset:         200
        .size:           8
        .value_kind:     hidden_global_offset_z
      - .offset:         208
        .size:           2
        .value_kind:     hidden_grid_dims
    .group_segment_fixed_size: 896
    .kernarg_segment_align: 8
    .kernarg_segment_size: 400
    .language:       OpenCL C
    .language_version:
      - 2
      - 0
    .max_flat_workgroup_size: 64
    .name:           _ZN9rocsparseL29bsrmmnt_small_blockdim_kernelILj64ELj64ELj2EllDF16_DF16_ffEEv20rocsparse_direction_T3_S2_llNS_24const_host_device_scalarIT7_EEPKT2_PKS2_PKT4_PKT5_llS5_PT6_ll16rocsparse_order_21rocsparse_index_base_b
    .private_segment_fixed_size: 0
    .sgpr_count:     45
    .sgpr_spill_count: 0
    .symbol:         _ZN9rocsparseL29bsrmmnt_small_blockdim_kernelILj64ELj64ELj2EllDF16_DF16_ffEEv20rocsparse_direction_T3_S2_llNS_24const_host_device_scalarIT7_EEPKT2_PKS2_PKT4_PKT5_llS5_PT6_ll16rocsparse_order_21rocsparse_index_base_b.kd
    .uniform_work_group_size: 1
    .uses_dynamic_stack: false
    .vgpr_count:     33
    .vgpr_spill_count: 0
    .wavefront_size: 64
  - .agpr_count:     0
    .args:
      - .offset:         0
        .size:           4
        .value_kind:     by_value
      - .offset:         4
        .size:           4
        .value_kind:     by_value
      - .offset:         8
        .size:           4
        .value_kind:     by_value
      - .offset:         16
        .size:           8
        .value_kind:     by_value
      - .offset:         24
        .size:           8
        .value_kind:     by_value
      - .offset:         32
        .size:           8
        .value_kind:     by_value
      - .actual_access:  read_only
        .address_space:  global
        .offset:         40
        .size:           8
        .value_kind:     global_buffer
      - .actual_access:  read_only
        .address_space:  global
        .offset:         48
        .size:           8
        .value_kind:     global_buffer
      - .actual_access:  read_only
        .address_space:  global
        .offset:         56
        .size:           8
        .value_kind:     global_buffer
      - .actual_access:  read_only
        .address_space:  global
        .offset:         64
        .size:           8
        .value_kind:     global_buffer
      - .offset:         72
        .size:           8
        .value_kind:     by_value
      - .offset:         80
        .size:           8
        .value_kind:     by_value
      - .offset:         88
        .size:           8
        .value_kind:     by_value
      - .address_space:  global
        .offset:         96
        .size:           8
        .value_kind:     global_buffer
      - .offset:         104
        .size:           8
        .value_kind:     by_value
      - .offset:         112
        .size:           8
        .value_kind:     by_value
      - .offset:         120
        .size:           4
        .value_kind:     by_value
      - .offset:         124
        .size:           4
        .value_kind:     by_value
      - .offset:         128
        .size:           1
        .value_kind:     by_value
      - .offset:         136
        .size:           4
        .value_kind:     hidden_block_count_x
      - .offset:         140
        .size:           4
        .value_kind:     hidden_block_count_y
      - .offset:         144
        .size:           4
        .value_kind:     hidden_block_count_z
      - .offset:         148
        .size:           2
        .value_kind:     hidden_group_size_x
      - .offset:         150
        .size:           2
        .value_kind:     hidden_group_size_y
      - .offset:         152
        .size:           2
        .value_kind:     hidden_group_size_z
      - .offset:         154
        .size:           2
        .value_kind:     hidden_remainder_x
      - .offset:         156
        .size:           2
        .value_kind:     hidden_remainder_y
      - .offset:         158
        .size:           2
        .value_kind:     hidden_remainder_z
      - .offset:         176
        .size:           8
        .value_kind:     hidden_global_offset_x
      - .offset:         184
        .size:           8
        .value_kind:     hidden_global_offset_y
      - .offset:         192
        .size:           8
        .value_kind:     hidden_global_offset_z
      - .offset:         200
        .size:           2
        .value_kind:     hidden_grid_dims
    .group_segment_fixed_size: 448
    .kernarg_segment_align: 8
    .kernarg_segment_size: 392
    .language:       OpenCL C
    .language_version:
      - 2
      - 0
    .max_flat_workgroup_size: 64
    .name:           _ZN9rocsparseL29bsrmmnt_small_blockdim_kernelILj64ELj8ELj2EiiaaiiEEv20rocsparse_direction_T3_S2_llNS_24const_host_device_scalarIT7_EEPKT2_PKS2_PKT4_PKT5_llS5_PT6_ll16rocsparse_order_21rocsparse_index_base_b
    .private_segment_fixed_size: 0
    .sgpr_count:     42
    .sgpr_spill_count: 0
    .symbol:         _ZN9rocsparseL29bsrmmnt_small_blockdim_kernelILj64ELj8ELj2EiiaaiiEEv20rocsparse_direction_T3_S2_llNS_24const_host_device_scalarIT7_EEPKT2_PKS2_PKT4_PKT5_llS5_PT6_ll16rocsparse_order_21rocsparse_index_base_b.kd
    .uniform_work_group_size: 1
    .uses_dynamic_stack: false
    .vgpr_count:     40
    .vgpr_spill_count: 0
    .wavefront_size: 64
  - .agpr_count:     0
    .args:
      - .offset:         0
        .size:           4
        .value_kind:     by_value
      - .offset:         4
        .size:           4
        .value_kind:     by_value
      - .offset:         8
        .size:           4
        .value_kind:     by_value
      - .offset:         16
        .size:           8
        .value_kind:     by_value
      - .offset:         24
        .size:           8
        .value_kind:     by_value
      - .offset:         32
        .size:           8
        .value_kind:     by_value
      - .actual_access:  read_only
        .address_space:  global
        .offset:         40
        .size:           8
        .value_kind:     global_buffer
      - .actual_access:  read_only
        .address_space:  global
        .offset:         48
        .size:           8
        .value_kind:     global_buffer
      - .actual_access:  read_only
        .address_space:  global
        .offset:         56
        .size:           8
        .value_kind:     global_buffer
      - .actual_access:  read_only
        .address_space:  global
        .offset:         64
        .size:           8
        .value_kind:     global_buffer
      - .offset:         72
        .size:           8
        .value_kind:     by_value
      - .offset:         80
        .size:           8
        .value_kind:     by_value
      - .offset:         88
        .size:           8
        .value_kind:     by_value
      - .address_space:  global
        .offset:         96
        .size:           8
        .value_kind:     global_buffer
      - .offset:         104
        .size:           8
        .value_kind:     by_value
      - .offset:         112
        .size:           8
        .value_kind:     by_value
      - .offset:         120
        .size:           4
        .value_kind:     by_value
      - .offset:         124
        .size:           4
        .value_kind:     by_value
      - .offset:         128
        .size:           1
        .value_kind:     by_value
      - .offset:         136
        .size:           4
        .value_kind:     hidden_block_count_x
      - .offset:         140
        .size:           4
        .value_kind:     hidden_block_count_y
      - .offset:         144
        .size:           4
        .value_kind:     hidden_block_count_z
      - .offset:         148
        .size:           2
        .value_kind:     hidden_group_size_x
      - .offset:         150
        .size:           2
        .value_kind:     hidden_group_size_y
      - .offset:         152
        .size:           2
        .value_kind:     hidden_group_size_z
      - .offset:         154
        .size:           2
        .value_kind:     hidden_remainder_x
      - .offset:         156
        .size:           2
        .value_kind:     hidden_remainder_y
      - .offset:         158
        .size:           2
        .value_kind:     hidden_remainder_z
      - .offset:         176
        .size:           8
        .value_kind:     hidden_global_offset_x
      - .offset:         184
        .size:           8
        .value_kind:     hidden_global_offset_y
      - .offset:         192
        .size:           8
        .value_kind:     hidden_global_offset_z
      - .offset:         200
        .size:           2
        .value_kind:     hidden_grid_dims
    .group_segment_fixed_size: 448
    .kernarg_segment_align: 8
    .kernarg_segment_size: 392
    .language:       OpenCL C
    .language_version:
      - 2
      - 0
    .max_flat_workgroup_size: 64
    .name:           _ZN9rocsparseL29bsrmmnt_small_blockdim_kernelILj64ELj16ELj2EiiaaiiEEv20rocsparse_direction_T3_S2_llNS_24const_host_device_scalarIT7_EEPKT2_PKS2_PKT4_PKT5_llS5_PT6_ll16rocsparse_order_21rocsparse_index_base_b
    .private_segment_fixed_size: 0
    .sgpr_count:     42
    .sgpr_spill_count: 0
    .symbol:         _ZN9rocsparseL29bsrmmnt_small_blockdim_kernelILj64ELj16ELj2EiiaaiiEEv20rocsparse_direction_T3_S2_llNS_24const_host_device_scalarIT7_EEPKT2_PKS2_PKT4_PKT5_llS5_PT6_ll16rocsparse_order_21rocsparse_index_base_b.kd
    .uniform_work_group_size: 1
    .uses_dynamic_stack: false
    .vgpr_count:     40
    .vgpr_spill_count: 0
    .wavefront_size: 64
  - .agpr_count:     0
    .args:
      - .offset:         0
        .size:           4
        .value_kind:     by_value
      - .offset:         4
        .size:           4
        .value_kind:     by_value
      - .offset:         8
        .size:           4
        .value_kind:     by_value
      - .offset:         16
        .size:           8
        .value_kind:     by_value
      - .offset:         24
        .size:           8
        .value_kind:     by_value
      - .offset:         32
        .size:           8
        .value_kind:     by_value
      - .actual_access:  read_only
        .address_space:  global
        .offset:         40
        .size:           8
        .value_kind:     global_buffer
      - .actual_access:  read_only
        .address_space:  global
        .offset:         48
        .size:           8
        .value_kind:     global_buffer
      - .actual_access:  read_only
        .address_space:  global
        .offset:         56
        .size:           8
        .value_kind:     global_buffer
      - .actual_access:  read_only
        .address_space:  global
        .offset:         64
        .size:           8
        .value_kind:     global_buffer
      - .offset:         72
        .size:           8
        .value_kind:     by_value
      - .offset:         80
        .size:           8
        .value_kind:     by_value
      - .offset:         88
        .size:           8
        .value_kind:     by_value
      - .address_space:  global
        .offset:         96
        .size:           8
        .value_kind:     global_buffer
      - .offset:         104
        .size:           8
        .value_kind:     by_value
      - .offset:         112
        .size:           8
        .value_kind:     by_value
      - .offset:         120
        .size:           4
        .value_kind:     by_value
      - .offset:         124
        .size:           4
        .value_kind:     by_value
      - .offset:         128
        .size:           1
        .value_kind:     by_value
      - .offset:         136
        .size:           4
        .value_kind:     hidden_block_count_x
      - .offset:         140
        .size:           4
        .value_kind:     hidden_block_count_y
      - .offset:         144
        .size:           4
        .value_kind:     hidden_block_count_z
      - .offset:         148
        .size:           2
        .value_kind:     hidden_group_size_x
      - .offset:         150
        .size:           2
        .value_kind:     hidden_group_size_y
      - .offset:         152
        .size:           2
        .value_kind:     hidden_group_size_z
      - .offset:         154
        .size:           2
        .value_kind:     hidden_remainder_x
      - .offset:         156
        .size:           2
        .value_kind:     hidden_remainder_y
      - .offset:         158
        .size:           2
        .value_kind:     hidden_remainder_z
      - .offset:         176
        .size:           8
        .value_kind:     hidden_global_offset_x
      - .offset:         184
        .size:           8
        .value_kind:     hidden_global_offset_y
      - .offset:         192
        .size:           8
        .value_kind:     hidden_global_offset_z
      - .offset:         200
        .size:           2
        .value_kind:     hidden_grid_dims
    .group_segment_fixed_size: 448
    .kernarg_segment_align: 8
    .kernarg_segment_size: 392
    .language:       OpenCL C
    .language_version:
      - 2
      - 0
    .max_flat_workgroup_size: 64
    .name:           _ZN9rocsparseL29bsrmmnt_small_blockdim_kernelILj64ELj32ELj2EiiaaiiEEv20rocsparse_direction_T3_S2_llNS_24const_host_device_scalarIT7_EEPKT2_PKS2_PKT4_PKT5_llS5_PT6_ll16rocsparse_order_21rocsparse_index_base_b
    .private_segment_fixed_size: 0
    .sgpr_count:     42
    .sgpr_spill_count: 0
    .symbol:         _ZN9rocsparseL29bsrmmnt_small_blockdim_kernelILj64ELj32ELj2EiiaaiiEEv20rocsparse_direction_T3_S2_llNS_24const_host_device_scalarIT7_EEPKT2_PKS2_PKT4_PKT5_llS5_PT6_ll16rocsparse_order_21rocsparse_index_base_b.kd
    .uniform_work_group_size: 1
    .uses_dynamic_stack: false
    .vgpr_count:     40
    .vgpr_spill_count: 0
    .wavefront_size: 64
  - .agpr_count:     0
    .args:
      - .offset:         0
        .size:           4
        .value_kind:     by_value
      - .offset:         4
        .size:           4
        .value_kind:     by_value
      - .offset:         8
        .size:           4
        .value_kind:     by_value
      - .offset:         16
        .size:           8
        .value_kind:     by_value
      - .offset:         24
        .size:           8
        .value_kind:     by_value
      - .offset:         32
        .size:           8
        .value_kind:     by_value
      - .actual_access:  read_only
        .address_space:  global
        .offset:         40
        .size:           8
        .value_kind:     global_buffer
      - .actual_access:  read_only
        .address_space:  global
        .offset:         48
        .size:           8
        .value_kind:     global_buffer
      - .actual_access:  read_only
        .address_space:  global
        .offset:         56
        .size:           8
        .value_kind:     global_buffer
      - .actual_access:  read_only
        .address_space:  global
        .offset:         64
        .size:           8
        .value_kind:     global_buffer
      - .offset:         72
        .size:           8
        .value_kind:     by_value
      - .offset:         80
        .size:           8
        .value_kind:     by_value
      - .offset:         88
        .size:           8
        .value_kind:     by_value
      - .address_space:  global
        .offset:         96
        .size:           8
        .value_kind:     global_buffer
      - .offset:         104
        .size:           8
        .value_kind:     by_value
      - .offset:         112
        .size:           8
        .value_kind:     by_value
      - .offset:         120
        .size:           4
        .value_kind:     by_value
      - .offset:         124
        .size:           4
        .value_kind:     by_value
      - .offset:         128
        .size:           1
        .value_kind:     by_value
      - .offset:         136
        .size:           4
        .value_kind:     hidden_block_count_x
      - .offset:         140
        .size:           4
        .value_kind:     hidden_block_count_y
      - .offset:         144
        .size:           4
        .value_kind:     hidden_block_count_z
      - .offset:         148
        .size:           2
        .value_kind:     hidden_group_size_x
      - .offset:         150
        .size:           2
        .value_kind:     hidden_group_size_y
      - .offset:         152
        .size:           2
        .value_kind:     hidden_group_size_z
      - .offset:         154
        .size:           2
        .value_kind:     hidden_remainder_x
      - .offset:         156
        .size:           2
        .value_kind:     hidden_remainder_y
      - .offset:         158
        .size:           2
        .value_kind:     hidden_remainder_z
      - .offset:         176
        .size:           8
        .value_kind:     hidden_global_offset_x
      - .offset:         184
        .size:           8
        .value_kind:     hidden_global_offset_y
      - .offset:         192
        .size:           8
        .value_kind:     hidden_global_offset_z
      - .offset:         200
        .size:           2
        .value_kind:     hidden_grid_dims
    .group_segment_fixed_size: 448
    .kernarg_segment_align: 8
    .kernarg_segment_size: 392
    .language:       OpenCL C
    .language_version:
      - 2
      - 0
    .max_flat_workgroup_size: 64
    .name:           _ZN9rocsparseL29bsrmmnt_small_blockdim_kernelILj64ELj64ELj2EiiaaiiEEv20rocsparse_direction_T3_S2_llNS_24const_host_device_scalarIT7_EEPKT2_PKS2_PKT4_PKT5_llS5_PT6_ll16rocsparse_order_21rocsparse_index_base_b
    .private_segment_fixed_size: 0
    .sgpr_count:     49
    .sgpr_spill_count: 0
    .symbol:         _ZN9rocsparseL29bsrmmnt_small_blockdim_kernelILj64ELj64ELj2EiiaaiiEEv20rocsparse_direction_T3_S2_llNS_24const_host_device_scalarIT7_EEPKT2_PKS2_PKT4_PKT5_llS5_PT6_ll16rocsparse_order_21rocsparse_index_base_b.kd
    .uniform_work_group_size: 1
    .uses_dynamic_stack: false
    .vgpr_count:     31
    .vgpr_spill_count: 0
    .wavefront_size: 64
  - .agpr_count:     0
    .args:
      - .offset:         0
        .size:           4
        .value_kind:     by_value
      - .offset:         4
        .size:           4
        .value_kind:     by_value
      - .offset:         8
        .size:           4
        .value_kind:     by_value
      - .offset:         16
        .size:           8
        .value_kind:     by_value
      - .offset:         24
        .size:           8
        .value_kind:     by_value
      - .offset:         32
        .size:           8
        .value_kind:     by_value
      - .actual_access:  read_only
        .address_space:  global
        .offset:         40
        .size:           8
        .value_kind:     global_buffer
      - .actual_access:  read_only
        .address_space:  global
        .offset:         48
        .size:           8
        .value_kind:     global_buffer
      - .actual_access:  read_only
        .address_space:  global
        .offset:         56
        .size:           8
        .value_kind:     global_buffer
      - .actual_access:  read_only
        .address_space:  global
        .offset:         64
        .size:           8
        .value_kind:     global_buffer
      - .offset:         72
        .size:           8
        .value_kind:     by_value
      - .offset:         80
        .size:           8
        .value_kind:     by_value
      - .offset:         88
        .size:           8
        .value_kind:     by_value
      - .address_space:  global
        .offset:         96
        .size:           8
        .value_kind:     global_buffer
      - .offset:         104
        .size:           8
        .value_kind:     by_value
      - .offset:         112
        .size:           8
        .value_kind:     by_value
      - .offset:         120
        .size:           4
        .value_kind:     by_value
      - .offset:         124
        .size:           4
        .value_kind:     by_value
      - .offset:         128
        .size:           1
        .value_kind:     by_value
      - .offset:         136
        .size:           4
        .value_kind:     hidden_block_count_x
      - .offset:         140
        .size:           4
        .value_kind:     hidden_block_count_y
      - .offset:         144
        .size:           4
        .value_kind:     hidden_block_count_z
      - .offset:         148
        .size:           2
        .value_kind:     hidden_group_size_x
      - .offset:         150
        .size:           2
        .value_kind:     hidden_group_size_y
      - .offset:         152
        .size:           2
        .value_kind:     hidden_group_size_z
      - .offset:         154
        .size:           2
        .value_kind:     hidden_remainder_x
      - .offset:         156
        .size:           2
        .value_kind:     hidden_remainder_y
      - .offset:         158
        .size:           2
        .value_kind:     hidden_remainder_z
      - .offset:         176
        .size:           8
        .value_kind:     hidden_global_offset_x
      - .offset:         184
        .size:           8
        .value_kind:     hidden_global_offset_y
      - .offset:         192
        .size:           8
        .value_kind:     hidden_global_offset_z
      - .offset:         200
        .size:           2
        .value_kind:     hidden_grid_dims
    .group_segment_fixed_size: 448
    .kernarg_segment_align: 8
    .kernarg_segment_size: 392
    .language:       OpenCL C
    .language_version:
      - 2
      - 0
    .max_flat_workgroup_size: 64
    .name:           _ZN9rocsparseL29bsrmmnt_small_blockdim_kernelILj64ELj8ELj2EliaaiiEEv20rocsparse_direction_T3_S2_llNS_24const_host_device_scalarIT7_EEPKT2_PKS2_PKT4_PKT5_llS5_PT6_ll16rocsparse_order_21rocsparse_index_base_b
    .private_segment_fixed_size: 0
    .sgpr_count:     42
    .sgpr_spill_count: 0
    .symbol:         _ZN9rocsparseL29bsrmmnt_small_blockdim_kernelILj64ELj8ELj2EliaaiiEEv20rocsparse_direction_T3_S2_llNS_24const_host_device_scalarIT7_EEPKT2_PKS2_PKT4_PKT5_llS5_PT6_ll16rocsparse_order_21rocsparse_index_base_b.kd
    .uniform_work_group_size: 1
    .uses_dynamic_stack: false
    .vgpr_count:     43
    .vgpr_spill_count: 0
    .wavefront_size: 64
  - .agpr_count:     0
    .args:
      - .offset:         0
        .size:           4
        .value_kind:     by_value
      - .offset:         4
        .size:           4
        .value_kind:     by_value
      - .offset:         8
        .size:           4
        .value_kind:     by_value
      - .offset:         16
        .size:           8
        .value_kind:     by_value
      - .offset:         24
        .size:           8
        .value_kind:     by_value
      - .offset:         32
        .size:           8
        .value_kind:     by_value
      - .actual_access:  read_only
        .address_space:  global
        .offset:         40
        .size:           8
        .value_kind:     global_buffer
      - .actual_access:  read_only
        .address_space:  global
        .offset:         48
        .size:           8
        .value_kind:     global_buffer
      - .actual_access:  read_only
        .address_space:  global
        .offset:         56
        .size:           8
        .value_kind:     global_buffer
      - .actual_access:  read_only
        .address_space:  global
        .offset:         64
        .size:           8
        .value_kind:     global_buffer
      - .offset:         72
        .size:           8
        .value_kind:     by_value
      - .offset:         80
        .size:           8
        .value_kind:     by_value
      - .offset:         88
        .size:           8
        .value_kind:     by_value
      - .address_space:  global
        .offset:         96
        .size:           8
        .value_kind:     global_buffer
      - .offset:         104
        .size:           8
        .value_kind:     by_value
      - .offset:         112
        .size:           8
        .value_kind:     by_value
      - .offset:         120
        .size:           4
        .value_kind:     by_value
      - .offset:         124
        .size:           4
        .value_kind:     by_value
      - .offset:         128
        .size:           1
        .value_kind:     by_value
      - .offset:         136
        .size:           4
        .value_kind:     hidden_block_count_x
      - .offset:         140
        .size:           4
        .value_kind:     hidden_block_count_y
      - .offset:         144
        .size:           4
        .value_kind:     hidden_block_count_z
      - .offset:         148
        .size:           2
        .value_kind:     hidden_group_size_x
      - .offset:         150
        .size:           2
        .value_kind:     hidden_group_size_y
      - .offset:         152
        .size:           2
        .value_kind:     hidden_group_size_z
      - .offset:         154
        .size:           2
        .value_kind:     hidden_remainder_x
      - .offset:         156
        .size:           2
        .value_kind:     hidden_remainder_y
      - .offset:         158
        .size:           2
        .value_kind:     hidden_remainder_z
      - .offset:         176
        .size:           8
        .value_kind:     hidden_global_offset_x
      - .offset:         184
        .size:           8
        .value_kind:     hidden_global_offset_y
      - .offset:         192
        .size:           8
        .value_kind:     hidden_global_offset_z
      - .offset:         200
        .size:           2
        .value_kind:     hidden_grid_dims
    .group_segment_fixed_size: 448
    .kernarg_segment_align: 8
    .kernarg_segment_size: 392
    .language:       OpenCL C
    .language_version:
      - 2
      - 0
    .max_flat_workgroup_size: 64
    .name:           _ZN9rocsparseL29bsrmmnt_small_blockdim_kernelILj64ELj16ELj2EliaaiiEEv20rocsparse_direction_T3_S2_llNS_24const_host_device_scalarIT7_EEPKT2_PKS2_PKT4_PKT5_llS5_PT6_ll16rocsparse_order_21rocsparse_index_base_b
    .private_segment_fixed_size: 0
    .sgpr_count:     42
    .sgpr_spill_count: 0
    .symbol:         _ZN9rocsparseL29bsrmmnt_small_blockdim_kernelILj64ELj16ELj2EliaaiiEEv20rocsparse_direction_T3_S2_llNS_24const_host_device_scalarIT7_EEPKT2_PKS2_PKT4_PKT5_llS5_PT6_ll16rocsparse_order_21rocsparse_index_base_b.kd
    .uniform_work_group_size: 1
    .uses_dynamic_stack: false
    .vgpr_count:     43
    .vgpr_spill_count: 0
    .wavefront_size: 64
  - .agpr_count:     0
    .args:
      - .offset:         0
        .size:           4
        .value_kind:     by_value
      - .offset:         4
        .size:           4
        .value_kind:     by_value
      - .offset:         8
        .size:           4
        .value_kind:     by_value
      - .offset:         16
        .size:           8
        .value_kind:     by_value
      - .offset:         24
        .size:           8
        .value_kind:     by_value
      - .offset:         32
        .size:           8
        .value_kind:     by_value
      - .actual_access:  read_only
        .address_space:  global
        .offset:         40
        .size:           8
        .value_kind:     global_buffer
      - .actual_access:  read_only
        .address_space:  global
        .offset:         48
        .size:           8
        .value_kind:     global_buffer
      - .actual_access:  read_only
        .address_space:  global
        .offset:         56
        .size:           8
        .value_kind:     global_buffer
      - .actual_access:  read_only
        .address_space:  global
        .offset:         64
        .size:           8
        .value_kind:     global_buffer
      - .offset:         72
        .size:           8
        .value_kind:     by_value
      - .offset:         80
        .size:           8
        .value_kind:     by_value
      - .offset:         88
        .size:           8
        .value_kind:     by_value
      - .address_space:  global
        .offset:         96
        .size:           8
        .value_kind:     global_buffer
      - .offset:         104
        .size:           8
        .value_kind:     by_value
      - .offset:         112
        .size:           8
        .value_kind:     by_value
      - .offset:         120
        .size:           4
        .value_kind:     by_value
      - .offset:         124
        .size:           4
        .value_kind:     by_value
      - .offset:         128
        .size:           1
        .value_kind:     by_value
      - .offset:         136
        .size:           4
        .value_kind:     hidden_block_count_x
      - .offset:         140
        .size:           4
        .value_kind:     hidden_block_count_y
      - .offset:         144
        .size:           4
        .value_kind:     hidden_block_count_z
      - .offset:         148
        .size:           2
        .value_kind:     hidden_group_size_x
      - .offset:         150
        .size:           2
        .value_kind:     hidden_group_size_y
      - .offset:         152
        .size:           2
        .value_kind:     hidden_group_size_z
      - .offset:         154
        .size:           2
        .value_kind:     hidden_remainder_x
      - .offset:         156
        .size:           2
        .value_kind:     hidden_remainder_y
      - .offset:         158
        .size:           2
        .value_kind:     hidden_remainder_z
      - .offset:         176
        .size:           8
        .value_kind:     hidden_global_offset_x
      - .offset:         184
        .size:           8
        .value_kind:     hidden_global_offset_y
      - .offset:         192
        .size:           8
        .value_kind:     hidden_global_offset_z
      - .offset:         200
        .size:           2
        .value_kind:     hidden_grid_dims
    .group_segment_fixed_size: 448
    .kernarg_segment_align: 8
    .kernarg_segment_size: 392
    .language:       OpenCL C
    .language_version:
      - 2
      - 0
    .max_flat_workgroup_size: 64
    .name:           _ZN9rocsparseL29bsrmmnt_small_blockdim_kernelILj64ELj32ELj2EliaaiiEEv20rocsparse_direction_T3_S2_llNS_24const_host_device_scalarIT7_EEPKT2_PKS2_PKT4_PKT5_llS5_PT6_ll16rocsparse_order_21rocsparse_index_base_b
    .private_segment_fixed_size: 0
    .sgpr_count:     42
    .sgpr_spill_count: 0
    .symbol:         _ZN9rocsparseL29bsrmmnt_small_blockdim_kernelILj64ELj32ELj2EliaaiiEEv20rocsparse_direction_T3_S2_llNS_24const_host_device_scalarIT7_EEPKT2_PKS2_PKT4_PKT5_llS5_PT6_ll16rocsparse_order_21rocsparse_index_base_b.kd
    .uniform_work_group_size: 1
    .uses_dynamic_stack: false
    .vgpr_count:     43
    .vgpr_spill_count: 0
    .wavefront_size: 64
  - .agpr_count:     0
    .args:
      - .offset:         0
        .size:           4
        .value_kind:     by_value
      - .offset:         4
        .size:           4
        .value_kind:     by_value
      - .offset:         8
        .size:           4
        .value_kind:     by_value
      - .offset:         16
        .size:           8
        .value_kind:     by_value
      - .offset:         24
        .size:           8
        .value_kind:     by_value
      - .offset:         32
        .size:           8
        .value_kind:     by_value
      - .actual_access:  read_only
        .address_space:  global
        .offset:         40
        .size:           8
        .value_kind:     global_buffer
      - .actual_access:  read_only
        .address_space:  global
        .offset:         48
        .size:           8
        .value_kind:     global_buffer
      - .actual_access:  read_only
        .address_space:  global
        .offset:         56
        .size:           8
        .value_kind:     global_buffer
      - .actual_access:  read_only
        .address_space:  global
        .offset:         64
        .size:           8
        .value_kind:     global_buffer
      - .offset:         72
        .size:           8
        .value_kind:     by_value
      - .offset:         80
        .size:           8
        .value_kind:     by_value
      - .offset:         88
        .size:           8
        .value_kind:     by_value
      - .address_space:  global
        .offset:         96
        .size:           8
        .value_kind:     global_buffer
      - .offset:         104
        .size:           8
        .value_kind:     by_value
      - .offset:         112
        .size:           8
        .value_kind:     by_value
      - .offset:         120
        .size:           4
        .value_kind:     by_value
      - .offset:         124
        .size:           4
        .value_kind:     by_value
      - .offset:         128
        .size:           1
        .value_kind:     by_value
      - .offset:         136
        .size:           4
        .value_kind:     hidden_block_count_x
      - .offset:         140
        .size:           4
        .value_kind:     hidden_block_count_y
      - .offset:         144
        .size:           4
        .value_kind:     hidden_block_count_z
      - .offset:         148
        .size:           2
        .value_kind:     hidden_group_size_x
      - .offset:         150
        .size:           2
        .value_kind:     hidden_group_size_y
      - .offset:         152
        .size:           2
        .value_kind:     hidden_group_size_z
      - .offset:         154
        .size:           2
        .value_kind:     hidden_remainder_x
      - .offset:         156
        .size:           2
        .value_kind:     hidden_remainder_y
      - .offset:         158
        .size:           2
        .value_kind:     hidden_remainder_z
      - .offset:         176
        .size:           8
        .value_kind:     hidden_global_offset_x
      - .offset:         184
        .size:           8
        .value_kind:     hidden_global_offset_y
      - .offset:         192
        .size:           8
        .value_kind:     hidden_global_offset_z
      - .offset:         200
        .size:           2
        .value_kind:     hidden_grid_dims
    .group_segment_fixed_size: 448
    .kernarg_segment_align: 8
    .kernarg_segment_size: 392
    .language:       OpenCL C
    .language_version:
      - 2
      - 0
    .max_flat_workgroup_size: 64
    .name:           _ZN9rocsparseL29bsrmmnt_small_blockdim_kernelILj64ELj64ELj2EliaaiiEEv20rocsparse_direction_T3_S2_llNS_24const_host_device_scalarIT7_EEPKT2_PKS2_PKT4_PKT5_llS5_PT6_ll16rocsparse_order_21rocsparse_index_base_b
    .private_segment_fixed_size: 0
    .sgpr_count:     49
    .sgpr_spill_count: 0
    .symbol:         _ZN9rocsparseL29bsrmmnt_small_blockdim_kernelILj64ELj64ELj2EliaaiiEEv20rocsparse_direction_T3_S2_llNS_24const_host_device_scalarIT7_EEPKT2_PKS2_PKT4_PKT5_llS5_PT6_ll16rocsparse_order_21rocsparse_index_base_b.kd
    .uniform_work_group_size: 1
    .uses_dynamic_stack: false
    .vgpr_count:     34
    .vgpr_spill_count: 0
    .wavefront_size: 64
  - .agpr_count:     0
    .args:
      - .offset:         0
        .size:           4
        .value_kind:     by_value
      - .offset:         8
        .size:           8
        .value_kind:     by_value
      - .offset:         16
        .size:           8
        .value_kind:     by_value
      - .offset:         24
        .size:           8
        .value_kind:     by_value
      - .offset:         32
        .size:           8
        .value_kind:     by_value
      - .offset:         40
        .size:           8
        .value_kind:     by_value
      - .actual_access:  read_only
        .address_space:  global
        .offset:         48
        .size:           8
        .value_kind:     global_buffer
      - .actual_access:  read_only
        .address_space:  global
        .offset:         56
        .size:           8
        .value_kind:     global_buffer
      - .actual_access:  read_only
        .address_space:  global
        .offset:         64
        .size:           8
        .value_kind:     global_buffer
      - .actual_access:  read_only
        .address_space:  global
        .offset:         72
        .size:           8
        .value_kind:     global_buffer
      - .offset:         80
        .size:           8
        .value_kind:     by_value
      - .offset:         88
        .size:           8
        .value_kind:     by_value
      - .offset:         96
        .size:           8
        .value_kind:     by_value
      - .address_space:  global
        .offset:         104
        .size:           8
        .value_kind:     global_buffer
      - .offset:         112
        .size:           8
        .value_kind:     by_value
      - .offset:         120
        .size:           8
        .value_kind:     by_value
      - .offset:         128
        .size:           4
        .value_kind:     by_value
      - .offset:         132
        .size:           4
        .value_kind:     by_value
      - .offset:         136
        .size:           1
        .value_kind:     by_value
      - .offset:         144
        .size:           4
        .value_kind:     hidden_block_count_x
      - .offset:         148
        .size:           4
        .value_kind:     hidden_block_count_y
      - .offset:         152
        .size:           4
        .value_kind:     hidden_block_count_z
      - .offset:         156
        .size:           2
        .value_kind:     hidden_group_size_x
      - .offset:         158
        .size:           2
        .value_kind:     hidden_group_size_y
      - .offset:         160
        .size:           2
        .value_kind:     hidden_group_size_z
      - .offset:         162
        .size:           2
        .value_kind:     hidden_remainder_x
      - .offset:         164
        .size:           2
        .value_kind:     hidden_remainder_y
      - .offset:         166
        .size:           2
        .value_kind:     hidden_remainder_z
      - .offset:         184
        .size:           8
        .value_kind:     hidden_global_offset_x
      - .offset:         192
        .size:           8
        .value_kind:     hidden_global_offset_y
      - .offset:         200
        .size:           8
        .value_kind:     hidden_global_offset_z
      - .offset:         208
        .size:           2
        .value_kind:     hidden_grid_dims
    .group_segment_fixed_size: 704
    .kernarg_segment_align: 8
    .kernarg_segment_size: 400
    .language:       OpenCL C
    .language_version:
      - 2
      - 0
    .max_flat_workgroup_size: 64
    .name:           _ZN9rocsparseL29bsrmmnt_small_blockdim_kernelILj64ELj8ELj2EllaaiiEEv20rocsparse_direction_T3_S2_llNS_24const_host_device_scalarIT7_EEPKT2_PKS2_PKT4_PKT5_llS5_PT6_ll16rocsparse_order_21rocsparse_index_base_b
    .private_segment_fixed_size: 0
    .sgpr_count:     44
    .sgpr_spill_count: 0
    .symbol:         _ZN9rocsparseL29bsrmmnt_small_blockdim_kernelILj64ELj8ELj2EllaaiiEEv20rocsparse_direction_T3_S2_llNS_24const_host_device_scalarIT7_EEPKT2_PKS2_PKT4_PKT5_llS5_PT6_ll16rocsparse_order_21rocsparse_index_base_b.kd
    .uniform_work_group_size: 1
    .uses_dynamic_stack: false
    .vgpr_count:     35
    .vgpr_spill_count: 0
    .wavefront_size: 64
  - .agpr_count:     0
    .args:
      - .offset:         0
        .size:           4
        .value_kind:     by_value
      - .offset:         8
        .size:           8
        .value_kind:     by_value
      - .offset:         16
        .size:           8
        .value_kind:     by_value
      - .offset:         24
        .size:           8
        .value_kind:     by_value
      - .offset:         32
        .size:           8
        .value_kind:     by_value
      - .offset:         40
        .size:           8
        .value_kind:     by_value
      - .actual_access:  read_only
        .address_space:  global
        .offset:         48
        .size:           8
        .value_kind:     global_buffer
      - .actual_access:  read_only
        .address_space:  global
        .offset:         56
        .size:           8
        .value_kind:     global_buffer
      - .actual_access:  read_only
        .address_space:  global
        .offset:         64
        .size:           8
        .value_kind:     global_buffer
      - .actual_access:  read_only
        .address_space:  global
        .offset:         72
        .size:           8
        .value_kind:     global_buffer
      - .offset:         80
        .size:           8
        .value_kind:     by_value
      - .offset:         88
        .size:           8
        .value_kind:     by_value
      - .offset:         96
        .size:           8
        .value_kind:     by_value
      - .address_space:  global
        .offset:         104
        .size:           8
        .value_kind:     global_buffer
      - .offset:         112
        .size:           8
        .value_kind:     by_value
      - .offset:         120
        .size:           8
        .value_kind:     by_value
      - .offset:         128
        .size:           4
        .value_kind:     by_value
      - .offset:         132
        .size:           4
        .value_kind:     by_value
      - .offset:         136
        .size:           1
        .value_kind:     by_value
      - .offset:         144
        .size:           4
        .value_kind:     hidden_block_count_x
      - .offset:         148
        .size:           4
        .value_kind:     hidden_block_count_y
      - .offset:         152
        .size:           4
        .value_kind:     hidden_block_count_z
      - .offset:         156
        .size:           2
        .value_kind:     hidden_group_size_x
      - .offset:         158
        .size:           2
        .value_kind:     hidden_group_size_y
      - .offset:         160
        .size:           2
        .value_kind:     hidden_group_size_z
      - .offset:         162
        .size:           2
        .value_kind:     hidden_remainder_x
      - .offset:         164
        .size:           2
        .value_kind:     hidden_remainder_y
      - .offset:         166
        .size:           2
        .value_kind:     hidden_remainder_z
      - .offset:         184
        .size:           8
        .value_kind:     hidden_global_offset_x
      - .offset:         192
        .size:           8
        .value_kind:     hidden_global_offset_y
      - .offset:         200
        .size:           8
        .value_kind:     hidden_global_offset_z
      - .offset:         208
        .size:           2
        .value_kind:     hidden_grid_dims
    .group_segment_fixed_size: 704
    .kernarg_segment_align: 8
    .kernarg_segment_size: 400
    .language:       OpenCL C
    .language_version:
      - 2
      - 0
    .max_flat_workgroup_size: 64
    .name:           _ZN9rocsparseL29bsrmmnt_small_blockdim_kernelILj64ELj16ELj2EllaaiiEEv20rocsparse_direction_T3_S2_llNS_24const_host_device_scalarIT7_EEPKT2_PKS2_PKT4_PKT5_llS5_PT6_ll16rocsparse_order_21rocsparse_index_base_b
    .private_segment_fixed_size: 0
    .sgpr_count:     44
    .sgpr_spill_count: 0
    .symbol:         _ZN9rocsparseL29bsrmmnt_small_blockdim_kernelILj64ELj16ELj2EllaaiiEEv20rocsparse_direction_T3_S2_llNS_24const_host_device_scalarIT7_EEPKT2_PKS2_PKT4_PKT5_llS5_PT6_ll16rocsparse_order_21rocsparse_index_base_b.kd
    .uniform_work_group_size: 1
    .uses_dynamic_stack: false
    .vgpr_count:     35
    .vgpr_spill_count: 0
    .wavefront_size: 64
  - .agpr_count:     0
    .args:
      - .offset:         0
        .size:           4
        .value_kind:     by_value
      - .offset:         8
        .size:           8
        .value_kind:     by_value
      - .offset:         16
        .size:           8
        .value_kind:     by_value
      - .offset:         24
        .size:           8
        .value_kind:     by_value
      - .offset:         32
        .size:           8
        .value_kind:     by_value
      - .offset:         40
        .size:           8
        .value_kind:     by_value
      - .actual_access:  read_only
        .address_space:  global
        .offset:         48
        .size:           8
        .value_kind:     global_buffer
      - .actual_access:  read_only
        .address_space:  global
        .offset:         56
        .size:           8
        .value_kind:     global_buffer
      - .actual_access:  read_only
        .address_space:  global
        .offset:         64
        .size:           8
        .value_kind:     global_buffer
      - .actual_access:  read_only
        .address_space:  global
        .offset:         72
        .size:           8
        .value_kind:     global_buffer
      - .offset:         80
        .size:           8
        .value_kind:     by_value
      - .offset:         88
        .size:           8
        .value_kind:     by_value
      - .offset:         96
        .size:           8
        .value_kind:     by_value
      - .address_space:  global
        .offset:         104
        .size:           8
        .value_kind:     global_buffer
      - .offset:         112
        .size:           8
        .value_kind:     by_value
      - .offset:         120
        .size:           8
        .value_kind:     by_value
      - .offset:         128
        .size:           4
        .value_kind:     by_value
      - .offset:         132
        .size:           4
        .value_kind:     by_value
      - .offset:         136
        .size:           1
        .value_kind:     by_value
      - .offset:         144
        .size:           4
        .value_kind:     hidden_block_count_x
      - .offset:         148
        .size:           4
        .value_kind:     hidden_block_count_y
      - .offset:         152
        .size:           4
        .value_kind:     hidden_block_count_z
      - .offset:         156
        .size:           2
        .value_kind:     hidden_group_size_x
      - .offset:         158
        .size:           2
        .value_kind:     hidden_group_size_y
      - .offset:         160
        .size:           2
        .value_kind:     hidden_group_size_z
      - .offset:         162
        .size:           2
        .value_kind:     hidden_remainder_x
      - .offset:         164
        .size:           2
        .value_kind:     hidden_remainder_y
      - .offset:         166
        .size:           2
        .value_kind:     hidden_remainder_z
      - .offset:         184
        .size:           8
        .value_kind:     hidden_global_offset_x
      - .offset:         192
        .size:           8
        .value_kind:     hidden_global_offset_y
      - .offset:         200
        .size:           8
        .value_kind:     hidden_global_offset_z
      - .offset:         208
        .size:           2
        .value_kind:     hidden_grid_dims
    .group_segment_fixed_size: 704
    .kernarg_segment_align: 8
    .kernarg_segment_size: 400
    .language:       OpenCL C
    .language_version:
      - 2
      - 0
    .max_flat_workgroup_size: 64
    .name:           _ZN9rocsparseL29bsrmmnt_small_blockdim_kernelILj64ELj32ELj2EllaaiiEEv20rocsparse_direction_T3_S2_llNS_24const_host_device_scalarIT7_EEPKT2_PKS2_PKT4_PKT5_llS5_PT6_ll16rocsparse_order_21rocsparse_index_base_b
    .private_segment_fixed_size: 0
    .sgpr_count:     44
    .sgpr_spill_count: 0
    .symbol:         _ZN9rocsparseL29bsrmmnt_small_blockdim_kernelILj64ELj32ELj2EllaaiiEEv20rocsparse_direction_T3_S2_llNS_24const_host_device_scalarIT7_EEPKT2_PKS2_PKT4_PKT5_llS5_PT6_ll16rocsparse_order_21rocsparse_index_base_b.kd
    .uniform_work_group_size: 1
    .uses_dynamic_stack: false
    .vgpr_count:     35
    .vgpr_spill_count: 0
    .wavefront_size: 64
  - .agpr_count:     0
    .args:
      - .offset:         0
        .size:           4
        .value_kind:     by_value
      - .offset:         8
        .size:           8
        .value_kind:     by_value
      - .offset:         16
        .size:           8
        .value_kind:     by_value
      - .offset:         24
        .size:           8
        .value_kind:     by_value
      - .offset:         32
        .size:           8
        .value_kind:     by_value
      - .offset:         40
        .size:           8
        .value_kind:     by_value
      - .actual_access:  read_only
        .address_space:  global
        .offset:         48
        .size:           8
        .value_kind:     global_buffer
      - .actual_access:  read_only
        .address_space:  global
        .offset:         56
        .size:           8
        .value_kind:     global_buffer
      - .actual_access:  read_only
        .address_space:  global
        .offset:         64
        .size:           8
        .value_kind:     global_buffer
      - .actual_access:  read_only
        .address_space:  global
        .offset:         72
        .size:           8
        .value_kind:     global_buffer
      - .offset:         80
        .size:           8
        .value_kind:     by_value
      - .offset:         88
        .size:           8
        .value_kind:     by_value
      - .offset:         96
        .size:           8
        .value_kind:     by_value
      - .address_space:  global
        .offset:         104
        .size:           8
        .value_kind:     global_buffer
      - .offset:         112
        .size:           8
        .value_kind:     by_value
      - .offset:         120
        .size:           8
        .value_kind:     by_value
      - .offset:         128
        .size:           4
        .value_kind:     by_value
      - .offset:         132
        .size:           4
        .value_kind:     by_value
      - .offset:         136
        .size:           1
        .value_kind:     by_value
      - .offset:         144
        .size:           4
        .value_kind:     hidden_block_count_x
      - .offset:         148
        .size:           4
        .value_kind:     hidden_block_count_y
      - .offset:         152
        .size:           4
        .value_kind:     hidden_block_count_z
      - .offset:         156
        .size:           2
        .value_kind:     hidden_group_size_x
      - .offset:         158
        .size:           2
        .value_kind:     hidden_group_size_y
      - .offset:         160
        .size:           2
        .value_kind:     hidden_group_size_z
      - .offset:         162
        .size:           2
        .value_kind:     hidden_remainder_x
      - .offset:         164
        .size:           2
        .value_kind:     hidden_remainder_y
      - .offset:         166
        .size:           2
        .value_kind:     hidden_remainder_z
      - .offset:         184
        .size:           8
        .value_kind:     hidden_global_offset_x
      - .offset:         192
        .size:           8
        .value_kind:     hidden_global_offset_y
      - .offset:         200
        .size:           8
        .value_kind:     hidden_global_offset_z
      - .offset:         208
        .size:           2
        .value_kind:     hidden_grid_dims
    .group_segment_fixed_size: 704
    .kernarg_segment_align: 8
    .kernarg_segment_size: 400
    .language:       OpenCL C
    .language_version:
      - 2
      - 0
    .max_flat_workgroup_size: 64
    .name:           _ZN9rocsparseL29bsrmmnt_small_blockdim_kernelILj64ELj64ELj2EllaaiiEEv20rocsparse_direction_T3_S2_llNS_24const_host_device_scalarIT7_EEPKT2_PKS2_PKT4_PKT5_llS5_PT6_ll16rocsparse_order_21rocsparse_index_base_b
    .private_segment_fixed_size: 0
    .sgpr_count:     44
    .sgpr_spill_count: 0
    .symbol:         _ZN9rocsparseL29bsrmmnt_small_blockdim_kernelILj64ELj64ELj2EllaaiiEEv20rocsparse_direction_T3_S2_llNS_24const_host_device_scalarIT7_EEPKT2_PKS2_PKT4_PKT5_llS5_PT6_ll16rocsparse_order_21rocsparse_index_base_b.kd
    .uniform_work_group_size: 1
    .uses_dynamic_stack: false
    .vgpr_count:     34
    .vgpr_spill_count: 0
    .wavefront_size: 64
  - .agpr_count:     0
    .args:
      - .offset:         0
        .size:           4
        .value_kind:     by_value
      - .offset:         4
        .size:           4
        .value_kind:     by_value
      - .offset:         8
        .size:           4
        .value_kind:     by_value
      - .offset:         16
        .size:           8
        .value_kind:     by_value
      - .offset:         24
        .size:           8
        .value_kind:     by_value
      - .offset:         32
        .size:           8
        .value_kind:     by_value
      - .actual_access:  read_only
        .address_space:  global
        .offset:         40
        .size:           8
        .value_kind:     global_buffer
      - .actual_access:  read_only
        .address_space:  global
        .offset:         48
        .size:           8
        .value_kind:     global_buffer
      - .actual_access:  read_only
        .address_space:  global
        .offset:         56
        .size:           8
        .value_kind:     global_buffer
      - .actual_access:  read_only
        .address_space:  global
        .offset:         64
        .size:           8
        .value_kind:     global_buffer
      - .offset:         72
        .size:           8
        .value_kind:     by_value
      - .offset:         80
        .size:           8
        .value_kind:     by_value
      - .offset:         88
        .size:           8
        .value_kind:     by_value
      - .address_space:  global
        .offset:         96
        .size:           8
        .value_kind:     global_buffer
      - .offset:         104
        .size:           8
        .value_kind:     by_value
      - .offset:         112
        .size:           8
        .value_kind:     by_value
      - .offset:         120
        .size:           4
        .value_kind:     by_value
      - .offset:         124
        .size:           4
        .value_kind:     by_value
      - .offset:         128
        .size:           1
        .value_kind:     by_value
      - .offset:         136
        .size:           4
        .value_kind:     hidden_block_count_x
      - .offset:         140
        .size:           4
        .value_kind:     hidden_block_count_y
      - .offset:         144
        .size:           4
        .value_kind:     hidden_block_count_z
      - .offset:         148
        .size:           2
        .value_kind:     hidden_group_size_x
      - .offset:         150
        .size:           2
        .value_kind:     hidden_group_size_y
      - .offset:         152
        .size:           2
        .value_kind:     hidden_group_size_z
      - .offset:         154
        .size:           2
        .value_kind:     hidden_remainder_x
      - .offset:         156
        .size:           2
        .value_kind:     hidden_remainder_y
      - .offset:         158
        .size:           2
        .value_kind:     hidden_remainder_z
      - .offset:         176
        .size:           8
        .value_kind:     hidden_global_offset_x
      - .offset:         184
        .size:           8
        .value_kind:     hidden_global_offset_y
      - .offset:         192
        .size:           8
        .value_kind:     hidden_global_offset_z
      - .offset:         200
        .size:           2
        .value_kind:     hidden_grid_dims
    .group_segment_fixed_size: 448
    .kernarg_segment_align: 8
    .kernarg_segment_size: 392
    .language:       OpenCL C
    .language_version:
      - 2
      - 0
    .max_flat_workgroup_size: 64
    .name:           _ZN9rocsparseL29bsrmmnt_small_blockdim_kernelILj64ELj8ELj2EiiaaffEEv20rocsparse_direction_T3_S2_llNS_24const_host_device_scalarIT7_EEPKT2_PKS2_PKT4_PKT5_llS5_PT6_ll16rocsparse_order_21rocsparse_index_base_b
    .private_segment_fixed_size: 0
    .sgpr_count:     40
    .sgpr_spill_count: 0
    .symbol:         _ZN9rocsparseL29bsrmmnt_small_blockdim_kernelILj64ELj8ELj2EiiaaffEEv20rocsparse_direction_T3_S2_llNS_24const_host_device_scalarIT7_EEPKT2_PKS2_PKT4_PKT5_llS5_PT6_ll16rocsparse_order_21rocsparse_index_base_b.kd
    .uniform_work_group_size: 1
    .uses_dynamic_stack: false
    .vgpr_count:     35
    .vgpr_spill_count: 0
    .wavefront_size: 64
  - .agpr_count:     0
    .args:
      - .offset:         0
        .size:           4
        .value_kind:     by_value
      - .offset:         4
        .size:           4
        .value_kind:     by_value
      - .offset:         8
        .size:           4
        .value_kind:     by_value
      - .offset:         16
        .size:           8
        .value_kind:     by_value
      - .offset:         24
        .size:           8
        .value_kind:     by_value
      - .offset:         32
        .size:           8
        .value_kind:     by_value
      - .actual_access:  read_only
        .address_space:  global
        .offset:         40
        .size:           8
        .value_kind:     global_buffer
      - .actual_access:  read_only
        .address_space:  global
        .offset:         48
        .size:           8
        .value_kind:     global_buffer
      - .actual_access:  read_only
        .address_space:  global
        .offset:         56
        .size:           8
        .value_kind:     global_buffer
      - .actual_access:  read_only
        .address_space:  global
        .offset:         64
        .size:           8
        .value_kind:     global_buffer
      - .offset:         72
        .size:           8
        .value_kind:     by_value
      - .offset:         80
        .size:           8
        .value_kind:     by_value
      - .offset:         88
        .size:           8
        .value_kind:     by_value
      - .address_space:  global
        .offset:         96
        .size:           8
        .value_kind:     global_buffer
      - .offset:         104
        .size:           8
        .value_kind:     by_value
      - .offset:         112
        .size:           8
        .value_kind:     by_value
      - .offset:         120
        .size:           4
        .value_kind:     by_value
      - .offset:         124
        .size:           4
        .value_kind:     by_value
      - .offset:         128
        .size:           1
        .value_kind:     by_value
      - .offset:         136
        .size:           4
        .value_kind:     hidden_block_count_x
      - .offset:         140
        .size:           4
        .value_kind:     hidden_block_count_y
      - .offset:         144
        .size:           4
        .value_kind:     hidden_block_count_z
      - .offset:         148
        .size:           2
        .value_kind:     hidden_group_size_x
      - .offset:         150
        .size:           2
        .value_kind:     hidden_group_size_y
      - .offset:         152
        .size:           2
        .value_kind:     hidden_group_size_z
      - .offset:         154
        .size:           2
        .value_kind:     hidden_remainder_x
      - .offset:         156
        .size:           2
        .value_kind:     hidden_remainder_y
      - .offset:         158
        .size:           2
        .value_kind:     hidden_remainder_z
      - .offset:         176
        .size:           8
        .value_kind:     hidden_global_offset_x
      - .offset:         184
        .size:           8
        .value_kind:     hidden_global_offset_y
      - .offset:         192
        .size:           8
        .value_kind:     hidden_global_offset_z
      - .offset:         200
        .size:           2
        .value_kind:     hidden_grid_dims
    .group_segment_fixed_size: 448
    .kernarg_segment_align: 8
    .kernarg_segment_size: 392
    .language:       OpenCL C
    .language_version:
      - 2
      - 0
    .max_flat_workgroup_size: 64
    .name:           _ZN9rocsparseL29bsrmmnt_small_blockdim_kernelILj64ELj16ELj2EiiaaffEEv20rocsparse_direction_T3_S2_llNS_24const_host_device_scalarIT7_EEPKT2_PKS2_PKT4_PKT5_llS5_PT6_ll16rocsparse_order_21rocsparse_index_base_b
    .private_segment_fixed_size: 0
    .sgpr_count:     40
    .sgpr_spill_count: 0
    .symbol:         _ZN9rocsparseL29bsrmmnt_small_blockdim_kernelILj64ELj16ELj2EiiaaffEEv20rocsparse_direction_T3_S2_llNS_24const_host_device_scalarIT7_EEPKT2_PKS2_PKT4_PKT5_llS5_PT6_ll16rocsparse_order_21rocsparse_index_base_b.kd
    .uniform_work_group_size: 1
    .uses_dynamic_stack: false
    .vgpr_count:     35
    .vgpr_spill_count: 0
    .wavefront_size: 64
  - .agpr_count:     0
    .args:
      - .offset:         0
        .size:           4
        .value_kind:     by_value
      - .offset:         4
        .size:           4
        .value_kind:     by_value
      - .offset:         8
        .size:           4
        .value_kind:     by_value
      - .offset:         16
        .size:           8
        .value_kind:     by_value
      - .offset:         24
        .size:           8
        .value_kind:     by_value
      - .offset:         32
        .size:           8
        .value_kind:     by_value
      - .actual_access:  read_only
        .address_space:  global
        .offset:         40
        .size:           8
        .value_kind:     global_buffer
      - .actual_access:  read_only
        .address_space:  global
        .offset:         48
        .size:           8
        .value_kind:     global_buffer
      - .actual_access:  read_only
        .address_space:  global
        .offset:         56
        .size:           8
        .value_kind:     global_buffer
      - .actual_access:  read_only
        .address_space:  global
        .offset:         64
        .size:           8
        .value_kind:     global_buffer
      - .offset:         72
        .size:           8
        .value_kind:     by_value
      - .offset:         80
        .size:           8
        .value_kind:     by_value
      - .offset:         88
        .size:           8
        .value_kind:     by_value
      - .address_space:  global
        .offset:         96
        .size:           8
        .value_kind:     global_buffer
      - .offset:         104
        .size:           8
        .value_kind:     by_value
      - .offset:         112
        .size:           8
        .value_kind:     by_value
      - .offset:         120
        .size:           4
        .value_kind:     by_value
      - .offset:         124
        .size:           4
        .value_kind:     by_value
      - .offset:         128
        .size:           1
        .value_kind:     by_value
      - .offset:         136
        .size:           4
        .value_kind:     hidden_block_count_x
      - .offset:         140
        .size:           4
        .value_kind:     hidden_block_count_y
      - .offset:         144
        .size:           4
        .value_kind:     hidden_block_count_z
      - .offset:         148
        .size:           2
        .value_kind:     hidden_group_size_x
      - .offset:         150
        .size:           2
        .value_kind:     hidden_group_size_y
      - .offset:         152
        .size:           2
        .value_kind:     hidden_group_size_z
      - .offset:         154
        .size:           2
        .value_kind:     hidden_remainder_x
      - .offset:         156
        .size:           2
        .value_kind:     hidden_remainder_y
      - .offset:         158
        .size:           2
        .value_kind:     hidden_remainder_z
      - .offset:         176
        .size:           8
        .value_kind:     hidden_global_offset_x
      - .offset:         184
        .size:           8
        .value_kind:     hidden_global_offset_y
      - .offset:         192
        .size:           8
        .value_kind:     hidden_global_offset_z
      - .offset:         200
        .size:           2
        .value_kind:     hidden_grid_dims
    .group_segment_fixed_size: 448
    .kernarg_segment_align: 8
    .kernarg_segment_size: 392
    .language:       OpenCL C
    .language_version:
      - 2
      - 0
    .max_flat_workgroup_size: 64
    .name:           _ZN9rocsparseL29bsrmmnt_small_blockdim_kernelILj64ELj32ELj2EiiaaffEEv20rocsparse_direction_T3_S2_llNS_24const_host_device_scalarIT7_EEPKT2_PKS2_PKT4_PKT5_llS5_PT6_ll16rocsparse_order_21rocsparse_index_base_b
    .private_segment_fixed_size: 0
    .sgpr_count:     40
    .sgpr_spill_count: 0
    .symbol:         _ZN9rocsparseL29bsrmmnt_small_blockdim_kernelILj64ELj32ELj2EiiaaffEEv20rocsparse_direction_T3_S2_llNS_24const_host_device_scalarIT7_EEPKT2_PKS2_PKT4_PKT5_llS5_PT6_ll16rocsparse_order_21rocsparse_index_base_b.kd
    .uniform_work_group_size: 1
    .uses_dynamic_stack: false
    .vgpr_count:     35
    .vgpr_spill_count: 0
    .wavefront_size: 64
  - .agpr_count:     0
    .args:
      - .offset:         0
        .size:           4
        .value_kind:     by_value
      - .offset:         4
        .size:           4
        .value_kind:     by_value
      - .offset:         8
        .size:           4
        .value_kind:     by_value
      - .offset:         16
        .size:           8
        .value_kind:     by_value
      - .offset:         24
        .size:           8
        .value_kind:     by_value
      - .offset:         32
        .size:           8
        .value_kind:     by_value
      - .actual_access:  read_only
        .address_space:  global
        .offset:         40
        .size:           8
        .value_kind:     global_buffer
      - .actual_access:  read_only
        .address_space:  global
        .offset:         48
        .size:           8
        .value_kind:     global_buffer
      - .actual_access:  read_only
        .address_space:  global
        .offset:         56
        .size:           8
        .value_kind:     global_buffer
      - .actual_access:  read_only
        .address_space:  global
        .offset:         64
        .size:           8
        .value_kind:     global_buffer
      - .offset:         72
        .size:           8
        .value_kind:     by_value
      - .offset:         80
        .size:           8
        .value_kind:     by_value
      - .offset:         88
        .size:           8
        .value_kind:     by_value
      - .address_space:  global
        .offset:         96
        .size:           8
        .value_kind:     global_buffer
      - .offset:         104
        .size:           8
        .value_kind:     by_value
      - .offset:         112
        .size:           8
        .value_kind:     by_value
      - .offset:         120
        .size:           4
        .value_kind:     by_value
      - .offset:         124
        .size:           4
        .value_kind:     by_value
      - .offset:         128
        .size:           1
        .value_kind:     by_value
      - .offset:         136
        .size:           4
        .value_kind:     hidden_block_count_x
      - .offset:         140
        .size:           4
        .value_kind:     hidden_block_count_y
      - .offset:         144
        .size:           4
        .value_kind:     hidden_block_count_z
      - .offset:         148
        .size:           2
        .value_kind:     hidden_group_size_x
      - .offset:         150
        .size:           2
        .value_kind:     hidden_group_size_y
      - .offset:         152
        .size:           2
        .value_kind:     hidden_group_size_z
      - .offset:         154
        .size:           2
        .value_kind:     hidden_remainder_x
      - .offset:         156
        .size:           2
        .value_kind:     hidden_remainder_y
      - .offset:         158
        .size:           2
        .value_kind:     hidden_remainder_z
      - .offset:         176
        .size:           8
        .value_kind:     hidden_global_offset_x
      - .offset:         184
        .size:           8
        .value_kind:     hidden_global_offset_y
      - .offset:         192
        .size:           8
        .value_kind:     hidden_global_offset_z
      - .offset:         200
        .size:           2
        .value_kind:     hidden_grid_dims
    .group_segment_fixed_size: 448
    .kernarg_segment_align: 8
    .kernarg_segment_size: 392
    .language:       OpenCL C
    .language_version:
      - 2
      - 0
    .max_flat_workgroup_size: 64
    .name:           _ZN9rocsparseL29bsrmmnt_small_blockdim_kernelILj64ELj64ELj2EiiaaffEEv20rocsparse_direction_T3_S2_llNS_24const_host_device_scalarIT7_EEPKT2_PKS2_PKT4_PKT5_llS5_PT6_ll16rocsparse_order_21rocsparse_index_base_b
    .private_segment_fixed_size: 0
    .sgpr_count:     45
    .sgpr_spill_count: 0
    .symbol:         _ZN9rocsparseL29bsrmmnt_small_blockdim_kernelILj64ELj64ELj2EiiaaffEEv20rocsparse_direction_T3_S2_llNS_24const_host_device_scalarIT7_EEPKT2_PKS2_PKT4_PKT5_llS5_PT6_ll16rocsparse_order_21rocsparse_index_base_b.kd
    .uniform_work_group_size: 1
    .uses_dynamic_stack: false
    .vgpr_count:     30
    .vgpr_spill_count: 0
    .wavefront_size: 64
  - .agpr_count:     0
    .args:
      - .offset:         0
        .size:           4
        .value_kind:     by_value
      - .offset:         4
        .size:           4
        .value_kind:     by_value
      - .offset:         8
        .size:           4
        .value_kind:     by_value
      - .offset:         16
        .size:           8
        .value_kind:     by_value
      - .offset:         24
        .size:           8
        .value_kind:     by_value
      - .offset:         32
        .size:           8
        .value_kind:     by_value
      - .actual_access:  read_only
        .address_space:  global
        .offset:         40
        .size:           8
        .value_kind:     global_buffer
      - .actual_access:  read_only
        .address_space:  global
        .offset:         48
        .size:           8
        .value_kind:     global_buffer
      - .actual_access:  read_only
        .address_space:  global
        .offset:         56
        .size:           8
        .value_kind:     global_buffer
      - .actual_access:  read_only
        .address_space:  global
        .offset:         64
        .size:           8
        .value_kind:     global_buffer
      - .offset:         72
        .size:           8
        .value_kind:     by_value
      - .offset:         80
        .size:           8
        .value_kind:     by_value
      - .offset:         88
        .size:           8
        .value_kind:     by_value
      - .address_space:  global
        .offset:         96
        .size:           8
        .value_kind:     global_buffer
      - .offset:         104
        .size:           8
        .value_kind:     by_value
      - .offset:         112
        .size:           8
        .value_kind:     by_value
      - .offset:         120
        .size:           4
        .value_kind:     by_value
      - .offset:         124
        .size:           4
        .value_kind:     by_value
      - .offset:         128
        .size:           1
        .value_kind:     by_value
      - .offset:         136
        .size:           4
        .value_kind:     hidden_block_count_x
      - .offset:         140
        .size:           4
        .value_kind:     hidden_block_count_y
      - .offset:         144
        .size:           4
        .value_kind:     hidden_block_count_z
      - .offset:         148
        .size:           2
        .value_kind:     hidden_group_size_x
      - .offset:         150
        .size:           2
        .value_kind:     hidden_group_size_y
      - .offset:         152
        .size:           2
        .value_kind:     hidden_group_size_z
      - .offset:         154
        .size:           2
        .value_kind:     hidden_remainder_x
      - .offset:         156
        .size:           2
        .value_kind:     hidden_remainder_y
      - .offset:         158
        .size:           2
        .value_kind:     hidden_remainder_z
      - .offset:         176
        .size:           8
        .value_kind:     hidden_global_offset_x
      - .offset:         184
        .size:           8
        .value_kind:     hidden_global_offset_y
      - .offset:         192
        .size:           8
        .value_kind:     hidden_global_offset_z
      - .offset:         200
        .size:           2
        .value_kind:     hidden_grid_dims
    .group_segment_fixed_size: 448
    .kernarg_segment_align: 8
    .kernarg_segment_size: 392
    .language:       OpenCL C
    .language_version:
      - 2
      - 0
    .max_flat_workgroup_size: 64
    .name:           _ZN9rocsparseL29bsrmmnt_small_blockdim_kernelILj64ELj8ELj2EliaaffEEv20rocsparse_direction_T3_S2_llNS_24const_host_device_scalarIT7_EEPKT2_PKS2_PKT4_PKT5_llS5_PT6_ll16rocsparse_order_21rocsparse_index_base_b
    .private_segment_fixed_size: 0
    .sgpr_count:     40
    .sgpr_spill_count: 0
    .symbol:         _ZN9rocsparseL29bsrmmnt_small_blockdim_kernelILj64ELj8ELj2EliaaffEEv20rocsparse_direction_T3_S2_llNS_24const_host_device_scalarIT7_EEPKT2_PKS2_PKT4_PKT5_llS5_PT6_ll16rocsparse_order_21rocsparse_index_base_b.kd
    .uniform_work_group_size: 1
    .uses_dynamic_stack: false
    .vgpr_count:     38
    .vgpr_spill_count: 0
    .wavefront_size: 64
  - .agpr_count:     0
    .args:
      - .offset:         0
        .size:           4
        .value_kind:     by_value
      - .offset:         4
        .size:           4
        .value_kind:     by_value
      - .offset:         8
        .size:           4
        .value_kind:     by_value
      - .offset:         16
        .size:           8
        .value_kind:     by_value
      - .offset:         24
        .size:           8
        .value_kind:     by_value
      - .offset:         32
        .size:           8
        .value_kind:     by_value
      - .actual_access:  read_only
        .address_space:  global
        .offset:         40
        .size:           8
        .value_kind:     global_buffer
      - .actual_access:  read_only
        .address_space:  global
        .offset:         48
        .size:           8
        .value_kind:     global_buffer
      - .actual_access:  read_only
        .address_space:  global
        .offset:         56
        .size:           8
        .value_kind:     global_buffer
      - .actual_access:  read_only
        .address_space:  global
        .offset:         64
        .size:           8
        .value_kind:     global_buffer
      - .offset:         72
        .size:           8
        .value_kind:     by_value
      - .offset:         80
        .size:           8
        .value_kind:     by_value
      - .offset:         88
        .size:           8
        .value_kind:     by_value
      - .address_space:  global
        .offset:         96
        .size:           8
        .value_kind:     global_buffer
      - .offset:         104
        .size:           8
        .value_kind:     by_value
      - .offset:         112
        .size:           8
        .value_kind:     by_value
      - .offset:         120
        .size:           4
        .value_kind:     by_value
      - .offset:         124
        .size:           4
        .value_kind:     by_value
      - .offset:         128
        .size:           1
        .value_kind:     by_value
      - .offset:         136
        .size:           4
        .value_kind:     hidden_block_count_x
      - .offset:         140
        .size:           4
        .value_kind:     hidden_block_count_y
      - .offset:         144
        .size:           4
        .value_kind:     hidden_block_count_z
      - .offset:         148
        .size:           2
        .value_kind:     hidden_group_size_x
      - .offset:         150
        .size:           2
        .value_kind:     hidden_group_size_y
      - .offset:         152
        .size:           2
        .value_kind:     hidden_group_size_z
      - .offset:         154
        .size:           2
        .value_kind:     hidden_remainder_x
      - .offset:         156
        .size:           2
        .value_kind:     hidden_remainder_y
      - .offset:         158
        .size:           2
        .value_kind:     hidden_remainder_z
      - .offset:         176
        .size:           8
        .value_kind:     hidden_global_offset_x
      - .offset:         184
        .size:           8
        .value_kind:     hidden_global_offset_y
      - .offset:         192
        .size:           8
        .value_kind:     hidden_global_offset_z
      - .offset:         200
        .size:           2
        .value_kind:     hidden_grid_dims
    .group_segment_fixed_size: 448
    .kernarg_segment_align: 8
    .kernarg_segment_size: 392
    .language:       OpenCL C
    .language_version:
      - 2
      - 0
    .max_flat_workgroup_size: 64
    .name:           _ZN9rocsparseL29bsrmmnt_small_blockdim_kernelILj64ELj16ELj2EliaaffEEv20rocsparse_direction_T3_S2_llNS_24const_host_device_scalarIT7_EEPKT2_PKS2_PKT4_PKT5_llS5_PT6_ll16rocsparse_order_21rocsparse_index_base_b
    .private_segment_fixed_size: 0
    .sgpr_count:     40
    .sgpr_spill_count: 0
    .symbol:         _ZN9rocsparseL29bsrmmnt_small_blockdim_kernelILj64ELj16ELj2EliaaffEEv20rocsparse_direction_T3_S2_llNS_24const_host_device_scalarIT7_EEPKT2_PKS2_PKT4_PKT5_llS5_PT6_ll16rocsparse_order_21rocsparse_index_base_b.kd
    .uniform_work_group_size: 1
    .uses_dynamic_stack: false
    .vgpr_count:     38
    .vgpr_spill_count: 0
    .wavefront_size: 64
  - .agpr_count:     0
    .args:
      - .offset:         0
        .size:           4
        .value_kind:     by_value
      - .offset:         4
        .size:           4
        .value_kind:     by_value
      - .offset:         8
        .size:           4
        .value_kind:     by_value
      - .offset:         16
        .size:           8
        .value_kind:     by_value
      - .offset:         24
        .size:           8
        .value_kind:     by_value
      - .offset:         32
        .size:           8
        .value_kind:     by_value
      - .actual_access:  read_only
        .address_space:  global
        .offset:         40
        .size:           8
        .value_kind:     global_buffer
      - .actual_access:  read_only
        .address_space:  global
        .offset:         48
        .size:           8
        .value_kind:     global_buffer
      - .actual_access:  read_only
        .address_space:  global
        .offset:         56
        .size:           8
        .value_kind:     global_buffer
      - .actual_access:  read_only
        .address_space:  global
        .offset:         64
        .size:           8
        .value_kind:     global_buffer
      - .offset:         72
        .size:           8
        .value_kind:     by_value
      - .offset:         80
        .size:           8
        .value_kind:     by_value
      - .offset:         88
        .size:           8
        .value_kind:     by_value
      - .address_space:  global
        .offset:         96
        .size:           8
        .value_kind:     global_buffer
      - .offset:         104
        .size:           8
        .value_kind:     by_value
      - .offset:         112
        .size:           8
        .value_kind:     by_value
      - .offset:         120
        .size:           4
        .value_kind:     by_value
      - .offset:         124
        .size:           4
        .value_kind:     by_value
      - .offset:         128
        .size:           1
        .value_kind:     by_value
      - .offset:         136
        .size:           4
        .value_kind:     hidden_block_count_x
      - .offset:         140
        .size:           4
        .value_kind:     hidden_block_count_y
      - .offset:         144
        .size:           4
        .value_kind:     hidden_block_count_z
      - .offset:         148
        .size:           2
        .value_kind:     hidden_group_size_x
      - .offset:         150
        .size:           2
        .value_kind:     hidden_group_size_y
      - .offset:         152
        .size:           2
        .value_kind:     hidden_group_size_z
      - .offset:         154
        .size:           2
        .value_kind:     hidden_remainder_x
      - .offset:         156
        .size:           2
        .value_kind:     hidden_remainder_y
      - .offset:         158
        .size:           2
        .value_kind:     hidden_remainder_z
      - .offset:         176
        .size:           8
        .value_kind:     hidden_global_offset_x
      - .offset:         184
        .size:           8
        .value_kind:     hidden_global_offset_y
      - .offset:         192
        .size:           8
        .value_kind:     hidden_global_offset_z
      - .offset:         200
        .size:           2
        .value_kind:     hidden_grid_dims
    .group_segment_fixed_size: 448
    .kernarg_segment_align: 8
    .kernarg_segment_size: 392
    .language:       OpenCL C
    .language_version:
      - 2
      - 0
    .max_flat_workgroup_size: 64
    .name:           _ZN9rocsparseL29bsrmmnt_small_blockdim_kernelILj64ELj32ELj2EliaaffEEv20rocsparse_direction_T3_S2_llNS_24const_host_device_scalarIT7_EEPKT2_PKS2_PKT4_PKT5_llS5_PT6_ll16rocsparse_order_21rocsparse_index_base_b
    .private_segment_fixed_size: 0
    .sgpr_count:     40
    .sgpr_spill_count: 0
    .symbol:         _ZN9rocsparseL29bsrmmnt_small_blockdim_kernelILj64ELj32ELj2EliaaffEEv20rocsparse_direction_T3_S2_llNS_24const_host_device_scalarIT7_EEPKT2_PKS2_PKT4_PKT5_llS5_PT6_ll16rocsparse_order_21rocsparse_index_base_b.kd
    .uniform_work_group_size: 1
    .uses_dynamic_stack: false
    .vgpr_count:     38
    .vgpr_spill_count: 0
    .wavefront_size: 64
  - .agpr_count:     0
    .args:
      - .offset:         0
        .size:           4
        .value_kind:     by_value
      - .offset:         4
        .size:           4
        .value_kind:     by_value
      - .offset:         8
        .size:           4
        .value_kind:     by_value
      - .offset:         16
        .size:           8
        .value_kind:     by_value
      - .offset:         24
        .size:           8
        .value_kind:     by_value
      - .offset:         32
        .size:           8
        .value_kind:     by_value
      - .actual_access:  read_only
        .address_space:  global
        .offset:         40
        .size:           8
        .value_kind:     global_buffer
      - .actual_access:  read_only
        .address_space:  global
        .offset:         48
        .size:           8
        .value_kind:     global_buffer
      - .actual_access:  read_only
        .address_space:  global
        .offset:         56
        .size:           8
        .value_kind:     global_buffer
      - .actual_access:  read_only
        .address_space:  global
        .offset:         64
        .size:           8
        .value_kind:     global_buffer
      - .offset:         72
        .size:           8
        .value_kind:     by_value
      - .offset:         80
        .size:           8
        .value_kind:     by_value
      - .offset:         88
        .size:           8
        .value_kind:     by_value
      - .address_space:  global
        .offset:         96
        .size:           8
        .value_kind:     global_buffer
      - .offset:         104
        .size:           8
        .value_kind:     by_value
      - .offset:         112
        .size:           8
        .value_kind:     by_value
      - .offset:         120
        .size:           4
        .value_kind:     by_value
      - .offset:         124
        .size:           4
        .value_kind:     by_value
      - .offset:         128
        .size:           1
        .value_kind:     by_value
      - .offset:         136
        .size:           4
        .value_kind:     hidden_block_count_x
      - .offset:         140
        .size:           4
        .value_kind:     hidden_block_count_y
      - .offset:         144
        .size:           4
        .value_kind:     hidden_block_count_z
      - .offset:         148
        .size:           2
        .value_kind:     hidden_group_size_x
      - .offset:         150
        .size:           2
        .value_kind:     hidden_group_size_y
      - .offset:         152
        .size:           2
        .value_kind:     hidden_group_size_z
      - .offset:         154
        .size:           2
        .value_kind:     hidden_remainder_x
      - .offset:         156
        .size:           2
        .value_kind:     hidden_remainder_y
      - .offset:         158
        .size:           2
        .value_kind:     hidden_remainder_z
      - .offset:         176
        .size:           8
        .value_kind:     hidden_global_offset_x
      - .offset:         184
        .size:           8
        .value_kind:     hidden_global_offset_y
      - .offset:         192
        .size:           8
        .value_kind:     hidden_global_offset_z
      - .offset:         200
        .size:           2
        .value_kind:     hidden_grid_dims
    .group_segment_fixed_size: 448
    .kernarg_segment_align: 8
    .kernarg_segment_size: 392
    .language:       OpenCL C
    .language_version:
      - 2
      - 0
    .max_flat_workgroup_size: 64
    .name:           _ZN9rocsparseL29bsrmmnt_small_blockdim_kernelILj64ELj64ELj2EliaaffEEv20rocsparse_direction_T3_S2_llNS_24const_host_device_scalarIT7_EEPKT2_PKS2_PKT4_PKT5_llS5_PT6_ll16rocsparse_order_21rocsparse_index_base_b
    .private_segment_fixed_size: 0
    .sgpr_count:     45
    .sgpr_spill_count: 0
    .symbol:         _ZN9rocsparseL29bsrmmnt_small_blockdim_kernelILj64ELj64ELj2EliaaffEEv20rocsparse_direction_T3_S2_llNS_24const_host_device_scalarIT7_EEPKT2_PKS2_PKT4_PKT5_llS5_PT6_ll16rocsparse_order_21rocsparse_index_base_b.kd
    .uniform_work_group_size: 1
    .uses_dynamic_stack: false
    .vgpr_count:     33
    .vgpr_spill_count: 0
    .wavefront_size: 64
  - .agpr_count:     0
    .args:
      - .offset:         0
        .size:           4
        .value_kind:     by_value
      - .offset:         8
        .size:           8
        .value_kind:     by_value
      - .offset:         16
        .size:           8
        .value_kind:     by_value
      - .offset:         24
        .size:           8
        .value_kind:     by_value
      - .offset:         32
        .size:           8
        .value_kind:     by_value
      - .offset:         40
        .size:           8
        .value_kind:     by_value
      - .actual_access:  read_only
        .address_space:  global
        .offset:         48
        .size:           8
        .value_kind:     global_buffer
      - .actual_access:  read_only
        .address_space:  global
        .offset:         56
        .size:           8
        .value_kind:     global_buffer
      - .actual_access:  read_only
        .address_space:  global
        .offset:         64
        .size:           8
        .value_kind:     global_buffer
      - .actual_access:  read_only
        .address_space:  global
        .offset:         72
        .size:           8
        .value_kind:     global_buffer
      - .offset:         80
        .size:           8
        .value_kind:     by_value
      - .offset:         88
        .size:           8
        .value_kind:     by_value
      - .offset:         96
        .size:           8
        .value_kind:     by_value
      - .address_space:  global
        .offset:         104
        .size:           8
        .value_kind:     global_buffer
      - .offset:         112
        .size:           8
        .value_kind:     by_value
      - .offset:         120
        .size:           8
        .value_kind:     by_value
      - .offset:         128
        .size:           4
        .value_kind:     by_value
      - .offset:         132
        .size:           4
        .value_kind:     by_value
      - .offset:         136
        .size:           1
        .value_kind:     by_value
      - .offset:         144
        .size:           4
        .value_kind:     hidden_block_count_x
      - .offset:         148
        .size:           4
        .value_kind:     hidden_block_count_y
      - .offset:         152
        .size:           4
        .value_kind:     hidden_block_count_z
      - .offset:         156
        .size:           2
        .value_kind:     hidden_group_size_x
      - .offset:         158
        .size:           2
        .value_kind:     hidden_group_size_y
      - .offset:         160
        .size:           2
        .value_kind:     hidden_group_size_z
      - .offset:         162
        .size:           2
        .value_kind:     hidden_remainder_x
      - .offset:         164
        .size:           2
        .value_kind:     hidden_remainder_y
      - .offset:         166
        .size:           2
        .value_kind:     hidden_remainder_z
      - .offset:         184
        .size:           8
        .value_kind:     hidden_global_offset_x
      - .offset:         192
        .size:           8
        .value_kind:     hidden_global_offset_y
      - .offset:         200
        .size:           8
        .value_kind:     hidden_global_offset_z
      - .offset:         208
        .size:           2
        .value_kind:     hidden_grid_dims
    .group_segment_fixed_size: 704
    .kernarg_segment_align: 8
    .kernarg_segment_size: 400
    .language:       OpenCL C
    .language_version:
      - 2
      - 0
    .max_flat_workgroup_size: 64
    .name:           _ZN9rocsparseL29bsrmmnt_small_blockdim_kernelILj64ELj8ELj2EllaaffEEv20rocsparse_direction_T3_S2_llNS_24const_host_device_scalarIT7_EEPKT2_PKS2_PKT4_PKT5_llS5_PT6_ll16rocsparse_order_21rocsparse_index_base_b
    .private_segment_fixed_size: 0
    .sgpr_count:     41
    .sgpr_spill_count: 0
    .symbol:         _ZN9rocsparseL29bsrmmnt_small_blockdim_kernelILj64ELj8ELj2EllaaffEEv20rocsparse_direction_T3_S2_llNS_24const_host_device_scalarIT7_EEPKT2_PKS2_PKT4_PKT5_llS5_PT6_ll16rocsparse_order_21rocsparse_index_base_b.kd
    .uniform_work_group_size: 1
    .uses_dynamic_stack: false
    .vgpr_count:     35
    .vgpr_spill_count: 0
    .wavefront_size: 64
  - .agpr_count:     0
    .args:
      - .offset:         0
        .size:           4
        .value_kind:     by_value
      - .offset:         8
        .size:           8
        .value_kind:     by_value
      - .offset:         16
        .size:           8
        .value_kind:     by_value
      - .offset:         24
        .size:           8
        .value_kind:     by_value
      - .offset:         32
        .size:           8
        .value_kind:     by_value
      - .offset:         40
        .size:           8
        .value_kind:     by_value
      - .actual_access:  read_only
        .address_space:  global
        .offset:         48
        .size:           8
        .value_kind:     global_buffer
      - .actual_access:  read_only
        .address_space:  global
        .offset:         56
        .size:           8
        .value_kind:     global_buffer
      - .actual_access:  read_only
        .address_space:  global
        .offset:         64
        .size:           8
        .value_kind:     global_buffer
      - .actual_access:  read_only
        .address_space:  global
        .offset:         72
        .size:           8
        .value_kind:     global_buffer
      - .offset:         80
        .size:           8
        .value_kind:     by_value
      - .offset:         88
        .size:           8
        .value_kind:     by_value
      - .offset:         96
        .size:           8
        .value_kind:     by_value
      - .address_space:  global
        .offset:         104
        .size:           8
        .value_kind:     global_buffer
      - .offset:         112
        .size:           8
        .value_kind:     by_value
      - .offset:         120
        .size:           8
        .value_kind:     by_value
      - .offset:         128
        .size:           4
        .value_kind:     by_value
      - .offset:         132
        .size:           4
        .value_kind:     by_value
      - .offset:         136
        .size:           1
        .value_kind:     by_value
      - .offset:         144
        .size:           4
        .value_kind:     hidden_block_count_x
      - .offset:         148
        .size:           4
        .value_kind:     hidden_block_count_y
      - .offset:         152
        .size:           4
        .value_kind:     hidden_block_count_z
      - .offset:         156
        .size:           2
        .value_kind:     hidden_group_size_x
      - .offset:         158
        .size:           2
        .value_kind:     hidden_group_size_y
      - .offset:         160
        .size:           2
        .value_kind:     hidden_group_size_z
      - .offset:         162
        .size:           2
        .value_kind:     hidden_remainder_x
      - .offset:         164
        .size:           2
        .value_kind:     hidden_remainder_y
      - .offset:         166
        .size:           2
        .value_kind:     hidden_remainder_z
      - .offset:         184
        .size:           8
        .value_kind:     hidden_global_offset_x
      - .offset:         192
        .size:           8
        .value_kind:     hidden_global_offset_y
      - .offset:         200
        .size:           8
        .value_kind:     hidden_global_offset_z
      - .offset:         208
        .size:           2
        .value_kind:     hidden_grid_dims
    .group_segment_fixed_size: 704
    .kernarg_segment_align: 8
    .kernarg_segment_size: 400
    .language:       OpenCL C
    .language_version:
      - 2
      - 0
    .max_flat_workgroup_size: 64
    .name:           _ZN9rocsparseL29bsrmmnt_small_blockdim_kernelILj64ELj16ELj2EllaaffEEv20rocsparse_direction_T3_S2_llNS_24const_host_device_scalarIT7_EEPKT2_PKS2_PKT4_PKT5_llS5_PT6_ll16rocsparse_order_21rocsparse_index_base_b
    .private_segment_fixed_size: 0
    .sgpr_count:     41
    .sgpr_spill_count: 0
    .symbol:         _ZN9rocsparseL29bsrmmnt_small_blockdim_kernelILj64ELj16ELj2EllaaffEEv20rocsparse_direction_T3_S2_llNS_24const_host_device_scalarIT7_EEPKT2_PKS2_PKT4_PKT5_llS5_PT6_ll16rocsparse_order_21rocsparse_index_base_b.kd
    .uniform_work_group_size: 1
    .uses_dynamic_stack: false
    .vgpr_count:     35
    .vgpr_spill_count: 0
    .wavefront_size: 64
  - .agpr_count:     0
    .args:
      - .offset:         0
        .size:           4
        .value_kind:     by_value
      - .offset:         8
        .size:           8
        .value_kind:     by_value
      - .offset:         16
        .size:           8
        .value_kind:     by_value
      - .offset:         24
        .size:           8
        .value_kind:     by_value
      - .offset:         32
        .size:           8
        .value_kind:     by_value
      - .offset:         40
        .size:           8
        .value_kind:     by_value
      - .actual_access:  read_only
        .address_space:  global
        .offset:         48
        .size:           8
        .value_kind:     global_buffer
      - .actual_access:  read_only
        .address_space:  global
        .offset:         56
        .size:           8
        .value_kind:     global_buffer
      - .actual_access:  read_only
        .address_space:  global
        .offset:         64
        .size:           8
        .value_kind:     global_buffer
      - .actual_access:  read_only
        .address_space:  global
        .offset:         72
        .size:           8
        .value_kind:     global_buffer
      - .offset:         80
        .size:           8
        .value_kind:     by_value
      - .offset:         88
        .size:           8
        .value_kind:     by_value
      - .offset:         96
        .size:           8
        .value_kind:     by_value
      - .address_space:  global
        .offset:         104
        .size:           8
        .value_kind:     global_buffer
      - .offset:         112
        .size:           8
        .value_kind:     by_value
      - .offset:         120
        .size:           8
        .value_kind:     by_value
      - .offset:         128
        .size:           4
        .value_kind:     by_value
      - .offset:         132
        .size:           4
        .value_kind:     by_value
      - .offset:         136
        .size:           1
        .value_kind:     by_value
      - .offset:         144
        .size:           4
        .value_kind:     hidden_block_count_x
      - .offset:         148
        .size:           4
        .value_kind:     hidden_block_count_y
      - .offset:         152
        .size:           4
        .value_kind:     hidden_block_count_z
      - .offset:         156
        .size:           2
        .value_kind:     hidden_group_size_x
      - .offset:         158
        .size:           2
        .value_kind:     hidden_group_size_y
      - .offset:         160
        .size:           2
        .value_kind:     hidden_group_size_z
      - .offset:         162
        .size:           2
        .value_kind:     hidden_remainder_x
      - .offset:         164
        .size:           2
        .value_kind:     hidden_remainder_y
      - .offset:         166
        .size:           2
        .value_kind:     hidden_remainder_z
      - .offset:         184
        .size:           8
        .value_kind:     hidden_global_offset_x
      - .offset:         192
        .size:           8
        .value_kind:     hidden_global_offset_y
      - .offset:         200
        .size:           8
        .value_kind:     hidden_global_offset_z
      - .offset:         208
        .size:           2
        .value_kind:     hidden_grid_dims
    .group_segment_fixed_size: 704
    .kernarg_segment_align: 8
    .kernarg_segment_size: 400
    .language:       OpenCL C
    .language_version:
      - 2
      - 0
    .max_flat_workgroup_size: 64
    .name:           _ZN9rocsparseL29bsrmmnt_small_blockdim_kernelILj64ELj32ELj2EllaaffEEv20rocsparse_direction_T3_S2_llNS_24const_host_device_scalarIT7_EEPKT2_PKS2_PKT4_PKT5_llS5_PT6_ll16rocsparse_order_21rocsparse_index_base_b
    .private_segment_fixed_size: 0
    .sgpr_count:     41
    .sgpr_spill_count: 0
    .symbol:         _ZN9rocsparseL29bsrmmnt_small_blockdim_kernelILj64ELj32ELj2EllaaffEEv20rocsparse_direction_T3_S2_llNS_24const_host_device_scalarIT7_EEPKT2_PKS2_PKT4_PKT5_llS5_PT6_ll16rocsparse_order_21rocsparse_index_base_b.kd
    .uniform_work_group_size: 1
    .uses_dynamic_stack: false
    .vgpr_count:     35
    .vgpr_spill_count: 0
    .wavefront_size: 64
  - .agpr_count:     0
    .args:
      - .offset:         0
        .size:           4
        .value_kind:     by_value
      - .offset:         8
        .size:           8
        .value_kind:     by_value
      - .offset:         16
        .size:           8
        .value_kind:     by_value
      - .offset:         24
        .size:           8
        .value_kind:     by_value
      - .offset:         32
        .size:           8
        .value_kind:     by_value
      - .offset:         40
        .size:           8
        .value_kind:     by_value
      - .actual_access:  read_only
        .address_space:  global
        .offset:         48
        .size:           8
        .value_kind:     global_buffer
      - .actual_access:  read_only
        .address_space:  global
        .offset:         56
        .size:           8
        .value_kind:     global_buffer
      - .actual_access:  read_only
        .address_space:  global
        .offset:         64
        .size:           8
        .value_kind:     global_buffer
      - .actual_access:  read_only
        .address_space:  global
        .offset:         72
        .size:           8
        .value_kind:     global_buffer
      - .offset:         80
        .size:           8
        .value_kind:     by_value
      - .offset:         88
        .size:           8
        .value_kind:     by_value
      - .offset:         96
        .size:           8
        .value_kind:     by_value
      - .address_space:  global
        .offset:         104
        .size:           8
        .value_kind:     global_buffer
      - .offset:         112
        .size:           8
        .value_kind:     by_value
      - .offset:         120
        .size:           8
        .value_kind:     by_value
      - .offset:         128
        .size:           4
        .value_kind:     by_value
      - .offset:         132
        .size:           4
        .value_kind:     by_value
      - .offset:         136
        .size:           1
        .value_kind:     by_value
      - .offset:         144
        .size:           4
        .value_kind:     hidden_block_count_x
      - .offset:         148
        .size:           4
        .value_kind:     hidden_block_count_y
      - .offset:         152
        .size:           4
        .value_kind:     hidden_block_count_z
      - .offset:         156
        .size:           2
        .value_kind:     hidden_group_size_x
      - .offset:         158
        .size:           2
        .value_kind:     hidden_group_size_y
      - .offset:         160
        .size:           2
        .value_kind:     hidden_group_size_z
      - .offset:         162
        .size:           2
        .value_kind:     hidden_remainder_x
      - .offset:         164
        .size:           2
        .value_kind:     hidden_remainder_y
      - .offset:         166
        .size:           2
        .value_kind:     hidden_remainder_z
      - .offset:         184
        .size:           8
        .value_kind:     hidden_global_offset_x
      - .offset:         192
        .size:           8
        .value_kind:     hidden_global_offset_y
      - .offset:         200
        .size:           8
        .value_kind:     hidden_global_offset_z
      - .offset:         208
        .size:           2
        .value_kind:     hidden_grid_dims
    .group_segment_fixed_size: 704
    .kernarg_segment_align: 8
    .kernarg_segment_size: 400
    .language:       OpenCL C
    .language_version:
      - 2
      - 0
    .max_flat_workgroup_size: 64
    .name:           _ZN9rocsparseL29bsrmmnt_small_blockdim_kernelILj64ELj64ELj2EllaaffEEv20rocsparse_direction_T3_S2_llNS_24const_host_device_scalarIT7_EEPKT2_PKS2_PKT4_PKT5_llS5_PT6_ll16rocsparse_order_21rocsparse_index_base_b
    .private_segment_fixed_size: 0
    .sgpr_count:     41
    .sgpr_spill_count: 0
    .symbol:         _ZN9rocsparseL29bsrmmnt_small_blockdim_kernelILj64ELj64ELj2EllaaffEEv20rocsparse_direction_T3_S2_llNS_24const_host_device_scalarIT7_EEPKT2_PKS2_PKT4_PKT5_llS5_PT6_ll16rocsparse_order_21rocsparse_index_base_b.kd
    .uniform_work_group_size: 1
    .uses_dynamic_stack: false
    .vgpr_count:     34
    .vgpr_spill_count: 0
    .wavefront_size: 64
amdhsa.target:   amdgcn-amd-amdhsa--gfx90a
amdhsa.version:
  - 1
  - 2
...

	.end_amdgpu_metadata
